;; amdgpu-corpus repo=pytorch/pytorch kind=compiled arch=gfx1100 opt=O3
	.text
	.amdgcn_target "amdgcn-amd-amdhsa--gfx1100"
	.amdhsa_code_object_version 6
	.section	.text._ZN2at6native12_GLOBAL__N_126adaptive_average_pool_nhwcIidEEvPKT0_PS3_iiiiiiiiT_S7_S7_S7_,"axG",@progbits,_ZN2at6native12_GLOBAL__N_126adaptive_average_pool_nhwcIidEEvPKT0_PS3_iiiiiiiiT_S7_S7_S7_,comdat
	.globl	_ZN2at6native12_GLOBAL__N_126adaptive_average_pool_nhwcIidEEvPKT0_PS3_iiiiiiiiT_S7_S7_S7_ ; -- Begin function _ZN2at6native12_GLOBAL__N_126adaptive_average_pool_nhwcIidEEvPKT0_PS3_iiiiiiiiT_S7_S7_S7_
	.p2align	8
	.type	_ZN2at6native12_GLOBAL__N_126adaptive_average_pool_nhwcIidEEvPKT0_PS3_iiiiiiiiT_S7_S7_S7_,@function
_ZN2at6native12_GLOBAL__N_126adaptive_average_pool_nhwcIidEEvPKT0_PS3_iiiiiiiiT_S7_S7_S7_: ; @_ZN2at6native12_GLOBAL__N_126adaptive_average_pool_nhwcIidEEvPKT0_PS3_iiiiiiiiT_S7_S7_S7_
; %bb.0:
	s_clause 0x3
	s_load_b128 s[20:23], s[0:1], 0x44
	s_load_b256 s[4:11], s[0:1], 0x10
	s_load_b128 s[16:19], s[0:1], 0x30
	s_load_b128 s[0:3], s[0:1], 0x0
	v_bfe_u32 v3, v0, 10, 10
	v_bfe_u32 v2, v0, 20, 10
	v_and_b32_e32 v4, 0x3ff, v0
	s_waitcnt lgkmcnt(0)
	s_lshr_b32 s12, s22, 16
	s_and_b32 s26, s22, 0xffff
	v_mad_u32_u24 v7, v2, s12, v3
	s_mul_i32 s24, s26, s11
	s_and_b32 s22, s23, 0xffff
	s_mul_i32 s23, s24, s12
	s_mov_b32 s24, exec_lo
	v_mad_u64_u32 v[0:1], null, v7, s26, v[4:5]
	s_mul_i32 s23, s23, s22
	s_delay_alu instid0(VALU_DEP_1) | instid1(SALU_CYCLE_1)
	v_cmpx_gt_u32_e64 s23, v0
	s_cbranch_execz .LBB0_3
; %bb.1:
	v_mov_b32_e32 v5, 0
	s_mul_i32 s25, s12, s26
	v_lshl_add_u32 v1, v0, 3, 0
	s_mul_i32 s25, s25, s22
	s_mov_b32 s27, 0
	v_mov_b32_e32 v6, v5
	s_lshl_b32 s28, s25, 3
.LBB0_2:                                ; =>This Inner Loop Header: Depth=1
	v_add_nc_u32_e32 v0, s25, v0
	ds_store_b64 v1, v[5:6]
	v_add_nc_u32_e32 v1, s28, v1
	v_cmp_le_u32_e32 vcc_lo, s23, v0
	s_or_b32 s27, vcc_lo, s27
	s_delay_alu instid0(SALU_CYCLE_1)
	s_and_not1_b32 exec_lo, exec_lo, s27
	s_cbranch_execnz .LBB0_2
.LBB0_3:
	s_or_b32 exec_lo, exec_lo, s24
	v_cvt_f32_u32_e32 v0, s21
	s_sub_i32 s23, 0, s21
	s_waitcnt lgkmcnt(0)
	s_barrier
	buffer_gl0_inv
	v_rcp_iflag_f32_e32 v0, v0
	s_waitcnt_depctr 0xfff
	v_mul_f32_e32 v0, 0x4f7ffffe, v0
	s_delay_alu instid0(VALU_DEP_1) | instskip(NEXT) | instid1(VALU_DEP_1)
	v_cvt_u32_f32_e32 v0, v0
	v_readfirstlane_b32 s24, v0
	v_cvt_f32_u32_e32 v0, s4
	s_delay_alu instid0(VALU_DEP_2)
	s_mul_i32 s25, s23, s24
	s_add_i32 s23, s8, -1
	s_mul_hi_u32 s25, s24, s25
	s_add_i32 s27, s23, s21
	s_add_i32 s24, s24, s25
	v_rcp_iflag_f32_e32 v5, v0
	s_mul_hi_u32 s24, s27, s24
	v_cvt_f32_u32_e32 v0, s20
	s_mul_i32 s25, s24, s21
	s_delay_alu instid0(SALU_CYCLE_1)
	s_sub_i32 s25, s27, s25
	s_add_i32 s27, s24, 1
	s_sub_i32 s28, s25, s21
	s_cmp_ge_u32 s25, s21
	v_rcp_iflag_f32_e32 v6, v0
	s_cselect_b32 s24, s27, s24
	s_cselect_b32 s25, s28, s25
	s_add_i32 s27, s24, 1
	s_cmp_ge_u32 s25, s21
	s_cselect_b32 s21, s27, s24
	s_delay_alu instid0(SALU_CYCLE_1) | instskip(SKIP_3) | instid1(VALU_DEP_1)
	v_mad_u64_u32 v[0:1], null, s21, s15, v[2:3]
	s_waitcnt_depctr 0xfff
	v_dual_mul_f32 v1, 0x4f7ffffe, v5 :: v_dual_mul_f32 v2, 0x4f7ffffe, v6
	s_mov_b32 s15, 0
	v_cvt_u32_f32_e32 v1, v1
	v_add_nc_u32_e32 v5, s21, v0
	s_delay_alu instid0(VALU_DEP_3) | instskip(SKIP_1) | instid1(VALU_DEP_3)
	v_cvt_u32_f32_e32 v2, v2
	s_mov_b32 s21, exec_lo
	v_readfirstlane_b32 s25, v1
	s_delay_alu instid0(VALU_DEP_3) | instskip(NEXT) | instid1(VALU_DEP_3)
	v_min_i32_e32 v9, s8, v5
	v_readfirstlane_b32 s24, v2
	s_delay_alu instid0(VALU_DEP_2)
	v_cmpx_lt_i32_e64 v0, v9
	s_cbranch_execz .LBB0_21
; %bb.4:
	s_sub_i32 s27, 0, s4
	s_sub_i32 s28, 0, s20
	s_mul_i32 s27, s27, s25
	s_mul_i32 s28, s28, s24
	s_mul_hi_u32 s27, s25, s27
	s_add_i32 s21, s9, -1
	s_add_i32 s25, s25, s27
	s_mul_hi_u32 s27, s24, s28
	s_mul_hi_u32 s25, s13, s25
	s_add_i32 s27, s24, s27
	s_mul_i32 s28, s25, s4
	s_add_i32 s30, s21, s20
	s_sub_i32 s24, s13, s28
	s_add_i32 s28, s25, 1
	s_sub_i32 s29, s24, s4
	s_cmp_ge_u32 s24, s4
	v_mul_lo_u32 v5, s11, v7
	s_cselect_b32 s25, s28, s25
	s_cselect_b32 s24, s29, s24
	s_add_i32 s28, s25, 1
	s_cmp_ge_u32 s24, s4
	s_mul_i32 s24, s8, s5
	s_cselect_b32 s31, s28, s25
	s_mul_i32 s24, s24, s9
	s_mul_i32 s4, s31, s4
	v_mul_lo_u32 v5, v5, s26
	s_sub_i32 s4, s13, s4
	v_lshlrev_b32_e32 v11, 3, v4
	s_mul_i32 s24, s24, s4
	s_mul_i32 s28, s4, s16
	s_ashr_i32 s25, s24, 31
	s_mul_i32 s11, s26, s10
	s_lshl_b64 s[24:25], s[24:25], 3
	s_delay_alu instid0(SALU_CYCLE_1)
	s_add_u32 s4, s2, s24
	s_addc_u32 s13, s3, s25
	s_ashr_i32 s29, s28, 31
	s_mul_hi_u32 s25, s30, s27
	s_lshl_b64 s[2:3], s[28:29], 3
	s_mul_i32 s27, s25, s20
	s_add_u32 s16, s0, s2
	s_addc_u32 s24, s1, s3
	s_sub_i32 s0, s30, s27
	s_add_i32 s1, s25, 1
	s_sub_i32 s2, s0, s20
	s_cmp_ge_u32 s0, s20
	s_cselect_b32 s1, s1, s25
	s_cselect_b32 s0, s2, s0
	s_add_i32 s2, s1, 1
	s_cmp_ge_u32 s0, s20
	s_cselect_b32 s0, s2, s1
	s_abs_i32 s20, s8
	s_abs_i32 s25, s9
	v_cvt_f32_u32_e32 v1, s20
	v_cvt_f32_u32_e32 v2, s25
	s_sub_i32 s1, 0, s20
	s_sub_i32 s2, 0, s25
	s_ashr_i32 s8, s8, 31
	v_rcp_iflag_f32_e32 v1, v1
	v_rcp_iflag_f32_e32 v2, v2
	s_waitcnt_depctr 0xfff
	v_dual_mul_f32 v1, 0x4f7ffffe, v1 :: v_dual_mul_f32 v2, 0x4f7ffffe, v2
	s_delay_alu instid0(VALU_DEP_1) | instskip(NEXT) | instid1(VALU_DEP_2)
	v_cvt_u32_f32_e32 v6, v1
	v_cvt_u32_f32_e32 v7, v2
	v_mad_u64_u32 v[1:2], null, s0, s14, v[3:4]
	v_mad_u64_u32 v[2:3], null, s31, s26, v[4:5]
	s_delay_alu instid0(VALU_DEP_4) | instskip(NEXT) | instid1(VALU_DEP_4)
	v_mul_lo_u32 v8, s1, v6
	v_mul_lo_u32 v10, s2, v7
	v_lshlrev_b32_e32 v4, 3, v5
	s_mul_i32 s14, s17, s10
	v_add_nc_u32_e32 v3, s0, v1
	s_ashr_i32 s10, s9, 31
	v_mul_lo_u32 v12, s17, v2
	v_cmp_gt_i32_e64 s0, s5, v2
	v_mul_hi_u32 v5, v6, v8
	v_mul_hi_u32 v8, v7, v10
	v_min_i32_e32 v10, s9, v3
	v_mov_b32_e32 v3, 0
	v_add3_u32 v11, v4, v11, 0
	s_mul_i32 s14, s14, s26
	s_lshl_b32 s17, s26, 3
	v_cmp_lt_i32_e64 s1, v1, v10
	v_add_nc_u32_e32 v13, v6, v5
	v_add_nc_u32_e32 v14, v7, v8
	s_branch .LBB0_6
.LBB0_5:                                ;   in Loop: Header=BB0_6 Depth=1
	s_or_b32 exec_lo, exec_lo, s26
	v_add_nc_u32_e32 v0, s22, v0
	s_delay_alu instid0(VALU_DEP_1) | instskip(SKIP_1) | instid1(SALU_CYCLE_1)
	v_cmp_ge_i32_e32 vcc_lo, v0, v9
	s_or_b32 s15, vcc_lo, s15
	s_and_not1_b32 exec_lo, exec_lo, s15
	s_cbranch_execz .LBB0_21
.LBB0_6:                                ; =>This Loop Header: Depth=1
                                        ;     Child Loop BB0_9 Depth 2
                                        ;       Child Loop BB0_12 Depth 3
                                        ;         Child Loop BB0_15 Depth 4
                                        ;           Child Loop BB0_17 Depth 5
                                        ;       Child Loop BB0_20 Depth 3
	s_delay_alu instid0(VALU_DEP_3)
	s_and_saveexec_b32 s26, s1
	s_cbranch_execz .LBB0_5
; %bb.7:                                ;   in Loop: Header=BB0_6 Depth=1
	v_mul_lo_u32 v4, v0, s6
	s_mov_b32 s27, 0
	v_mov_b32_e32 v19, v1
	s_delay_alu instid0(VALU_DEP_2) | instskip(SKIP_1) | instid1(VALU_DEP_2)
	v_add3_u32 v5, s23, s6, v4
	v_sub_nc_u32_e32 v6, 0, v4
	v_sub_nc_u32_e32 v7, 0, v5
	s_delay_alu instid0(VALU_DEP_2) | instskip(SKIP_1) | instid1(VALU_DEP_3)
	v_max_i32_e32 v6, v4, v6
	v_ashrrev_i32_e32 v4, 31, v4
	v_max_i32_e32 v7, v5, v7
	s_delay_alu instid0(VALU_DEP_3) | instskip(SKIP_1) | instid1(VALU_DEP_4)
	v_mul_hi_u32 v8, v6, v13
	v_ashrrev_i32_e32 v5, 31, v5
	v_xor_b32_e32 v4, s8, v4
	s_delay_alu instid0(VALU_DEP_4) | instskip(NEXT) | instid1(VALU_DEP_3)
	v_mul_hi_u32 v15, v7, v13
	v_xor_b32_e32 v5, s8, v5
	v_mul_lo_u32 v16, v8, s20
	s_delay_alu instid0(VALU_DEP_3) | instskip(NEXT) | instid1(VALU_DEP_2)
	v_mul_lo_u32 v17, v15, s20
	v_sub_nc_u32_e32 v6, v6, v16
	s_delay_alu instid0(VALU_DEP_2) | instskip(NEXT) | instid1(VALU_DEP_2)
	v_sub_nc_u32_e32 v7, v7, v17
	v_cmp_le_u32_e32 vcc_lo, s20, v6
	v_add_nc_u32_e32 v17, 1, v15
	s_delay_alu instid0(VALU_DEP_3) | instskip(SKIP_1) | instid1(VALU_DEP_2)
	v_cmp_le_u32_e64 s2, s20, v7
	v_subrev_nc_u32_e32 v18, s20, v7
	v_cndmask_b32_e64 v15, v15, v17, s2
	s_delay_alu instid0(VALU_DEP_2) | instskip(NEXT) | instid1(VALU_DEP_2)
	v_cndmask_b32_e64 v7, v7, v18, s2
	v_add_nc_u32_e32 v17, 1, v15
	v_add_nc_u32_e32 v16, 1, v8
	s_delay_alu instid0(VALU_DEP_1) | instskip(SKIP_1) | instid1(VALU_DEP_1)
	v_cndmask_b32_e32 v8, v8, v16, vcc_lo
	v_subrev_nc_u32_e32 v16, s20, v6
	v_cndmask_b32_e32 v6, v6, v16, vcc_lo
	s_delay_alu instid0(VALU_DEP_3) | instskip(NEXT) | instid1(VALU_DEP_2)
	v_add_nc_u32_e32 v16, 1, v8
	v_cmp_le_u32_e32 vcc_lo, s20, v6
	s_delay_alu instid0(VALU_DEP_2) | instskip(SKIP_1) | instid1(VALU_DEP_2)
	v_cndmask_b32_e32 v6, v8, v16, vcc_lo
	v_cmp_le_u32_e32 vcc_lo, s20, v7
	v_xor_b32_e32 v6, v6, v4
	v_cndmask_b32_e32 v7, v15, v17, vcc_lo
	v_mul_lo_u32 v17, v0, s9
	s_delay_alu instid0(VALU_DEP_3) | instskip(NEXT) | instid1(VALU_DEP_3)
	v_sub_nc_u32_e32 v15, v6, v4
	v_xor_b32_e32 v7, v7, v5
	s_delay_alu instid0(VALU_DEP_1) | instskip(NEXT) | instid1(VALU_DEP_1)
	v_sub_nc_u32_e32 v16, v7, v5
	v_sub_nc_u32_e32 v18, v16, v15
	v_cmp_gt_i32_e64 s2, v16, v15
	s_branch .LBB0_9
.LBB0_8:                                ;   in Loop: Header=BB0_9 Depth=2
	s_or_b32 exec_lo, exec_lo, s28
	v_add_nc_u32_e32 v19, s12, v19
	s_delay_alu instid0(VALU_DEP_1) | instskip(SKIP_1) | instid1(SALU_CYCLE_1)
	v_cmp_ge_i32_e32 vcc_lo, v19, v10
	s_or_b32 s27, vcc_lo, s27
	s_and_not1_b32 exec_lo, exec_lo, s27
	s_cbranch_execz .LBB0_5
.LBB0_9:                                ;   Parent Loop BB0_6 Depth=1
                                        ; =>  This Loop Header: Depth=2
                                        ;       Child Loop BB0_12 Depth 3
                                        ;         Child Loop BB0_15 Depth 4
                                        ;           Child Loop BB0_17 Depth 5
                                        ;       Child Loop BB0_20 Depth 3
	v_mul_lo_u32 v4, v19, s7
	s_delay_alu instid0(VALU_DEP_1) | instskip(SKIP_1) | instid1(VALU_DEP_2)
	v_sub_nc_u32_e32 v6, 0, v4
	v_add3_u32 v5, s21, s7, v4
	v_max_i32_e32 v6, v4, v6
	s_delay_alu instid0(VALU_DEP_2) | instskip(SKIP_1) | instid1(VALU_DEP_3)
	v_sub_nc_u32_e32 v7, 0, v5
	v_ashrrev_i32_e32 v4, 31, v4
	v_mul_hi_u32 v8, v6, v14
	s_delay_alu instid0(VALU_DEP_3) | instskip(SKIP_1) | instid1(VALU_DEP_4)
	v_max_i32_e32 v7, v5, v7
	v_ashrrev_i32_e32 v5, 31, v5
	v_xor_b32_e32 v4, s10, v4
	s_delay_alu instid0(VALU_DEP_3) | instskip(NEXT) | instid1(VALU_DEP_3)
	v_mul_hi_u32 v20, v7, v14
	v_xor_b32_e32 v5, s10, v5
	v_mul_lo_u32 v21, v8, s25
	s_delay_alu instid0(VALU_DEP_3) | instskip(NEXT) | instid1(VALU_DEP_2)
	v_mul_lo_u32 v22, v20, s25
	v_sub_nc_u32_e32 v6, v6, v21
	v_add_nc_u32_e32 v21, 1, v8
	s_delay_alu instid0(VALU_DEP_2) | instskip(NEXT) | instid1(VALU_DEP_4)
	v_cmp_le_u32_e32 vcc_lo, s25, v6
	v_sub_nc_u32_e32 v7, v7, v22
	v_add_nc_u32_e32 v22, 1, v20
	s_delay_alu instid0(VALU_DEP_4) | instskip(SKIP_1) | instid1(VALU_DEP_4)
	v_cndmask_b32_e32 v8, v8, v21, vcc_lo
	v_subrev_nc_u32_e32 v21, s25, v6
	v_subrev_nc_u32_e32 v23, s25, v7
	v_cmp_le_u32_e64 s3, s25, v7
	s_delay_alu instid0(VALU_DEP_3) | instskip(NEXT) | instid1(VALU_DEP_2)
	v_dual_cndmask_b32 v6, v6, v21 :: v_dual_add_nc_u32 v21, 1, v8
	v_cndmask_b32_e64 v20, v20, v22, s3
	s_delay_alu instid0(VALU_DEP_4) | instskip(NEXT) | instid1(VALU_DEP_3)
	v_cndmask_b32_e64 v7, v7, v23, s3
	v_cmp_le_u32_e32 vcc_lo, s25, v6
	s_delay_alu instid0(VALU_DEP_3) | instskip(SKIP_1) | instid1(VALU_DEP_4)
	v_add_nc_u32_e32 v22, 1, v20
	v_cndmask_b32_e32 v6, v8, v21, vcc_lo
	v_cmp_le_u32_e32 vcc_lo, s25, v7
	s_delay_alu instid0(VALU_DEP_2) | instskip(NEXT) | instid1(VALU_DEP_4)
	v_xor_b32_e32 v6, v6, v4
	v_cndmask_b32_e32 v7, v20, v22, vcc_lo
	s_delay_alu instid0(VALU_DEP_2) | instskip(NEXT) | instid1(VALU_DEP_2)
	v_sub_nc_u32_e32 v6, v6, v4
	v_xor_b32_e32 v7, v7, v5
	s_delay_alu instid0(VALU_DEP_1)
	v_sub_nc_u32_e32 v7, v7, v5
	s_and_saveexec_b32 s28, s2
	s_cbranch_execz .LBB0_18
; %bb.10:                               ;   in Loop: Header=BB0_9 Depth=2
	s_delay_alu instid0(VALU_DEP_1)
	v_cmp_gt_i32_e32 vcc_lo, v7, v6
	v_mov_b32_e32 v8, v15
	s_mov_b32 s29, 0
	s_branch .LBB0_12
.LBB0_11:                               ;   in Loop: Header=BB0_12 Depth=3
	s_set_inst_prefetch_distance 0x2
	s_or_b32 exec_lo, exec_lo, s30
	v_add_nc_u32_e32 v8, 1, v8
	s_delay_alu instid0(VALU_DEP_1) | instskip(NEXT) | instid1(VALU_DEP_1)
	v_cmp_ge_i32_e64 s3, v8, v16
	s_or_b32 s29, s3, s29
	s_delay_alu instid0(SALU_CYCLE_1)
	s_and_not1_b32 exec_lo, exec_lo, s29
	s_cbranch_execz .LBB0_18
.LBB0_12:                               ;   Parent Loop BB0_6 Depth=1
                                        ;     Parent Loop BB0_9 Depth=2
                                        ; =>    This Loop Header: Depth=3
                                        ;         Child Loop BB0_15 Depth 4
                                        ;           Child Loop BB0_17 Depth 5
	s_and_saveexec_b32 s30, vcc_lo
	s_cbranch_execz .LBB0_11
; %bb.13:                               ;   in Loop: Header=BB0_12 Depth=3
	v_mul_lo_u32 v4, v8, s18
	v_mov_b32_e32 v22, v6
	s_mov_b32 s31, 0
	s_delay_alu instid0(VALU_DEP_2) | instskip(NEXT) | instid1(VALU_DEP_1)
	v_ashrrev_i32_e32 v5, 31, v4
	v_lshlrev_b64 v[4:5], 3, v[4:5]
	s_delay_alu instid0(VALU_DEP_1) | instskip(NEXT) | instid1(VALU_DEP_1)
	v_add_co_u32 v20, s3, s16, v4
	v_add_co_ci_u32_e64 v21, s3, s24, v5, s3
	s_set_inst_prefetch_distance 0x1
	s_branch .LBB0_15
	.p2align	6
.LBB0_14:                               ;   in Loop: Header=BB0_15 Depth=4
	s_or_b32 exec_lo, exec_lo, s33
	v_add_nc_u32_e32 v22, 1, v22
	s_delay_alu instid0(VALU_DEP_1) | instskip(NEXT) | instid1(VALU_DEP_1)
	v_cmp_ge_i32_e64 s3, v22, v7
	s_or_b32 s31, s3, s31
	s_delay_alu instid0(SALU_CYCLE_1)
	s_and_not1_b32 exec_lo, exec_lo, s31
	s_cbranch_execz .LBB0_11
.LBB0_15:                               ;   Parent Loop BB0_6 Depth=1
                                        ;     Parent Loop BB0_9 Depth=2
                                        ;       Parent Loop BB0_12 Depth=3
                                        ; =>      This Loop Header: Depth=4
                                        ;           Child Loop BB0_17 Depth 5
	s_and_saveexec_b32 s33, s0
	s_cbranch_execz .LBB0_14
; %bb.16:                               ;   in Loop: Header=BB0_15 Depth=4
	v_mul_lo_u32 v4, v22, s19
	v_dual_mov_b32 v23, v11 :: v_dual_mov_b32 v26, v2
	s_mov_b32 s34, 0
	s_delay_alu instid0(VALU_DEP_2) | instskip(NEXT) | instid1(VALU_DEP_1)
	v_ashrrev_i32_e32 v5, 31, v4
	v_lshlrev_b64 v[24:25], 3, v[4:5]
	v_mov_b32_e32 v4, v12
	s_delay_alu instid0(VALU_DEP_2) | instskip(NEXT) | instid1(VALU_DEP_1)
	v_add_co_u32 v24, s3, v20, v24
	v_add_co_ci_u32_e64 v25, s3, v21, v25, s3
	.p2align	6
.LBB0_17:                               ;   Parent Loop BB0_6 Depth=1
                                        ;     Parent Loop BB0_9 Depth=2
                                        ;       Parent Loop BB0_12 Depth=3
                                        ;         Parent Loop BB0_15 Depth=4
                                        ; =>        This Inner Loop Header: Depth=5
	s_delay_alu instid0(VALU_DEP_3) | instskip(SKIP_4) | instid1(VALU_DEP_2)
	v_ashrrev_i32_e32 v5, 31, v4
	ds_load_b64 v[29:30], v23
	v_add_nc_u32_e32 v26, s11, v26
	v_lshlrev_b64 v[27:28], 3, v[4:5]
	v_add_nc_u32_e32 v4, s14, v4
	v_add_co_u32 v27, s3, v24, v27
	s_delay_alu instid0(VALU_DEP_1)
	v_add_co_ci_u32_e64 v28, s3, v25, v28, s3
	v_cmp_le_i32_e64 s3, s5, v26
	global_load_b64 v[27:28], v[27:28], off
	s_or_b32 s34, s3, s34
	s_waitcnt vmcnt(0) lgkmcnt(0)
	v_add_f64 v[27:28], v[27:28], v[29:30]
	ds_store_b64 v23, v[27:28]
	v_add_nc_u32_e32 v23, s17, v23
	s_and_not1_b32 exec_lo, exec_lo, s34
	s_cbranch_execnz .LBB0_17
	s_branch .LBB0_14
.LBB0_18:                               ;   in Loop: Header=BB0_9 Depth=2
	s_or_b32 exec_lo, exec_lo, s28
	s_and_saveexec_b32 s28, s0
	s_cbranch_execz .LBB0_8
; %bb.19:                               ;   in Loop: Header=BB0_9 Depth=2
	v_sub_nc_u32_e32 v4, v7, v6
	s_mov_b32 s29, 0
	s_delay_alu instid0(VALU_DEP_1) | instskip(NEXT) | instid1(VALU_DEP_1)
	v_mul_lo_u32 v4, v4, v18
	v_cvt_f64_i32_e32 v[4:5], v4
	s_delay_alu instid0(VALU_DEP_1) | instskip(NEXT) | instid1(VALU_DEP_1)
	v_div_scale_f64 v[6:7], null, v[4:5], v[4:5], 1.0
	v_rcp_f64_e32 v[20:21], v[6:7]
	s_waitcnt_depctr 0xfff
	v_fma_f64 v[22:23], -v[6:7], v[20:21], 1.0
	s_delay_alu instid0(VALU_DEP_1) | instskip(NEXT) | instid1(VALU_DEP_1)
	v_fma_f64 v[20:21], v[20:21], v[22:23], v[20:21]
	v_fma_f64 v[22:23], -v[6:7], v[20:21], 1.0
	s_delay_alu instid0(VALU_DEP_1) | instskip(SKIP_1) | instid1(VALU_DEP_1)
	v_fma_f64 v[20:21], v[20:21], v[22:23], v[20:21]
	v_div_scale_f64 v[22:23], vcc_lo, 1.0, v[4:5], 1.0
	v_mul_f64 v[24:25], v[22:23], v[20:21]
	s_delay_alu instid0(VALU_DEP_1) | instskip(SKIP_1) | instid1(VALU_DEP_2)
	v_fma_f64 v[6:7], -v[6:7], v[24:25], v[22:23]
	v_mov_b32_e32 v22, v11
	v_div_fmas_f64 v[6:7], v[6:7], v[20:21], v[24:25]
	s_delay_alu instid0(VALU_DEP_1) | instskip(SKIP_1) | instid1(VALU_DEP_1)
	v_div_fixup_f64 v[5:6], v[6:7], v[4:5], 1.0
	v_add_nc_u32_e32 v4, v19, v17
	v_mul_lo_u32 v7, v4, s5
	s_delay_alu instid0(VALU_DEP_1) | instskip(NEXT) | instid1(VALU_DEP_1)
	v_ashrrev_i32_e32 v8, 31, v7
	v_lshlrev_b64 v[7:8], 3, v[7:8]
	s_delay_alu instid0(VALU_DEP_1) | instskip(SKIP_1) | instid1(VALU_DEP_3)
	v_add_co_u32 v20, vcc_lo, s4, v7
	v_mov_b32_e32 v7, v2
	v_add_co_ci_u32_e32 v21, vcc_lo, s13, v8, vcc_lo
	.p2align	6
.LBB0_20:                               ;   Parent Loop BB0_6 Depth=1
                                        ;     Parent Loop BB0_9 Depth=2
                                        ; =>    This Inner Loop Header: Depth=3
	ds_load_b64 v[23:24], v22
	v_ashrrev_i32_e32 v8, 31, v7
	v_mov_b32_e32 v4, v3
	s_delay_alu instid0(VALU_DEP_2)
	v_lshlrev_b64 v[25:26], 3, v[7:8]
	v_add_nc_u32_e32 v7, s11, v7
	ds_store_b64 v22, v[3:4]
	v_add_nc_u32_e32 v22, s17, v22
	v_cmp_le_i32_e32 vcc_lo, s5, v7
	v_add_co_u32 v25, s3, v20, v25
	s_delay_alu instid0(VALU_DEP_1)
	v_add_co_ci_u32_e64 v26, s3, v21, v26, s3
	s_or_b32 s29, vcc_lo, s29
	s_waitcnt lgkmcnt(1)
	v_mul_f64 v[23:24], v[5:6], v[23:24]
	global_store_b64 v[25:26], v[23:24], off
	s_and_not1_b32 exec_lo, exec_lo, s29
	s_cbranch_execnz .LBB0_20
	s_branch .LBB0_8
.LBB0_21:
	s_nop 0
	s_sendmsg sendmsg(MSG_DEALLOC_VGPRS)
	s_endpgm
	.section	.rodata,"a",@progbits
	.p2align	6, 0x0
	.amdhsa_kernel _ZN2at6native12_GLOBAL__N_126adaptive_average_pool_nhwcIidEEvPKT0_PS3_iiiiiiiiT_S7_S7_S7_
		.amdhsa_group_segment_fixed_size 0
		.amdhsa_private_segment_fixed_size 0
		.amdhsa_kernarg_size 320
		.amdhsa_user_sgpr_count 13
		.amdhsa_user_sgpr_dispatch_ptr 0
		.amdhsa_user_sgpr_queue_ptr 0
		.amdhsa_user_sgpr_kernarg_segment_ptr 1
		.amdhsa_user_sgpr_dispatch_id 0
		.amdhsa_user_sgpr_private_segment_size 0
		.amdhsa_wavefront_size32 1
		.amdhsa_uses_dynamic_stack 0
		.amdhsa_enable_private_segment 0
		.amdhsa_system_sgpr_workgroup_id_x 1
		.amdhsa_system_sgpr_workgroup_id_y 1
		.amdhsa_system_sgpr_workgroup_id_z 1
		.amdhsa_system_sgpr_workgroup_info 0
		.amdhsa_system_vgpr_workitem_id 2
		.amdhsa_next_free_vgpr 31
		.amdhsa_next_free_sgpr 35
		.amdhsa_reserve_vcc 1
		.amdhsa_float_round_mode_32 0
		.amdhsa_float_round_mode_16_64 0
		.amdhsa_float_denorm_mode_32 3
		.amdhsa_float_denorm_mode_16_64 3
		.amdhsa_dx10_clamp 1
		.amdhsa_ieee_mode 1
		.amdhsa_fp16_overflow 0
		.amdhsa_workgroup_processor_mode 1
		.amdhsa_memory_ordered 1
		.amdhsa_forward_progress 0
		.amdhsa_shared_vgpr_count 0
		.amdhsa_exception_fp_ieee_invalid_op 0
		.amdhsa_exception_fp_denorm_src 0
		.amdhsa_exception_fp_ieee_div_zero 0
		.amdhsa_exception_fp_ieee_overflow 0
		.amdhsa_exception_fp_ieee_underflow 0
		.amdhsa_exception_fp_ieee_inexact 0
		.amdhsa_exception_int_div_zero 0
	.end_amdhsa_kernel
	.section	.text._ZN2at6native12_GLOBAL__N_126adaptive_average_pool_nhwcIidEEvPKT0_PS3_iiiiiiiiT_S7_S7_S7_,"axG",@progbits,_ZN2at6native12_GLOBAL__N_126adaptive_average_pool_nhwcIidEEvPKT0_PS3_iiiiiiiiT_S7_S7_S7_,comdat
.Lfunc_end0:
	.size	_ZN2at6native12_GLOBAL__N_126adaptive_average_pool_nhwcIidEEvPKT0_PS3_iiiiiiiiT_S7_S7_S7_, .Lfunc_end0-_ZN2at6native12_GLOBAL__N_126adaptive_average_pool_nhwcIidEEvPKT0_PS3_iiiiiiiiT_S7_S7_S7_
                                        ; -- End function
	.section	.AMDGPU.csdata,"",@progbits
; Kernel info:
; codeLenInByte = 2056
; NumSgprs: 37
; NumVgprs: 31
; ScratchSize: 0
; MemoryBound: 0
; FloatMode: 240
; IeeeMode: 1
; LDSByteSize: 0 bytes/workgroup (compile time only)
; SGPRBlocks: 4
; VGPRBlocks: 3
; NumSGPRsForWavesPerEU: 37
; NumVGPRsForWavesPerEU: 31
; Occupancy: 16
; WaveLimiterHint : 0
; COMPUTE_PGM_RSRC2:SCRATCH_EN: 0
; COMPUTE_PGM_RSRC2:USER_SGPR: 13
; COMPUTE_PGM_RSRC2:TRAP_HANDLER: 0
; COMPUTE_PGM_RSRC2:TGID_X_EN: 1
; COMPUTE_PGM_RSRC2:TGID_Y_EN: 1
; COMPUTE_PGM_RSRC2:TGID_Z_EN: 1
; COMPUTE_PGM_RSRC2:TIDIG_COMP_CNT: 2
	.section	.text._ZN2at6native12_GLOBAL__N_126adaptive_average_pool_nhwcIifEEvPKT0_PS3_iiiiiiiiT_S7_S7_S7_,"axG",@progbits,_ZN2at6native12_GLOBAL__N_126adaptive_average_pool_nhwcIifEEvPKT0_PS3_iiiiiiiiT_S7_S7_S7_,comdat
	.globl	_ZN2at6native12_GLOBAL__N_126adaptive_average_pool_nhwcIifEEvPKT0_PS3_iiiiiiiiT_S7_S7_S7_ ; -- Begin function _ZN2at6native12_GLOBAL__N_126adaptive_average_pool_nhwcIifEEvPKT0_PS3_iiiiiiiiT_S7_S7_S7_
	.p2align	8
	.type	_ZN2at6native12_GLOBAL__N_126adaptive_average_pool_nhwcIifEEvPKT0_PS3_iiiiiiiiT_S7_S7_S7_,@function
_ZN2at6native12_GLOBAL__N_126adaptive_average_pool_nhwcIifEEvPKT0_PS3_iiiiiiiiT_S7_S7_S7_: ; @_ZN2at6native12_GLOBAL__N_126adaptive_average_pool_nhwcIifEEvPKT0_PS3_iiiiiiiiT_S7_S7_S7_
; %bb.0:
	s_clause 0x3
	s_load_b128 s[20:23], s[0:1], 0x44
	s_load_b256 s[4:11], s[0:1], 0x10
	s_load_b128 s[16:19], s[0:1], 0x30
	s_load_b128 s[0:3], s[0:1], 0x0
	v_bfe_u32 v3, v0, 10, 10
	v_bfe_u32 v2, v0, 20, 10
	v_and_b32_e32 v4, 0x3ff, v0
	s_waitcnt lgkmcnt(0)
	s_lshr_b32 s12, s22, 16
	s_and_b32 s26, s22, 0xffff
	v_mad_u32_u24 v6, v2, s12, v3
	s_mul_i32 s24, s26, s11
	s_and_b32 s22, s23, 0xffff
	s_mul_i32 s23, s24, s12
	s_mov_b32 s24, exec_lo
	v_mad_u64_u32 v[0:1], null, v6, s26, v[4:5]
	s_mul_i32 s23, s23, s22
	s_delay_alu instid0(VALU_DEP_1) | instid1(SALU_CYCLE_1)
	v_cmpx_gt_u32_e64 s23, v0
	s_cbranch_execz .LBB1_3
; %bb.1:
	s_mul_i32 s25, s12, s26
	v_lshl_add_u32 v1, v0, 2, 0
	v_mov_b32_e32 v5, 0
	s_mul_i32 s25, s25, s22
	s_mov_b32 s27, 0
	s_lshl_b32 s28, s25, 2
.LBB1_2:                                ; =>This Inner Loop Header: Depth=1
	v_add_nc_u32_e32 v0, s25, v0
	ds_store_b32 v1, v5
	v_add_nc_u32_e32 v1, s28, v1
	v_cmp_le_u32_e32 vcc_lo, s23, v0
	s_or_b32 s27, vcc_lo, s27
	s_delay_alu instid0(SALU_CYCLE_1)
	s_and_not1_b32 exec_lo, exec_lo, s27
	s_cbranch_execnz .LBB1_2
.LBB1_3:
	s_or_b32 exec_lo, exec_lo, s24
	v_cvt_f32_u32_e32 v0, s21
	s_sub_i32 s23, 0, s21
	s_waitcnt lgkmcnt(0)
	s_barrier
	buffer_gl0_inv
	v_rcp_iflag_f32_e32 v0, v0
	s_waitcnt_depctr 0xfff
	v_mul_f32_e32 v0, 0x4f7ffffe, v0
	s_delay_alu instid0(VALU_DEP_1) | instskip(NEXT) | instid1(VALU_DEP_1)
	v_cvt_u32_f32_e32 v0, v0
	v_readfirstlane_b32 s24, v0
	v_cvt_f32_u32_e32 v0, s4
	s_delay_alu instid0(VALU_DEP_2)
	s_mul_i32 s25, s23, s24
	s_add_i32 s23, s8, -1
	s_mul_hi_u32 s25, s24, s25
	s_add_i32 s27, s23, s21
	s_add_i32 s24, s24, s25
	v_rcp_iflag_f32_e32 v5, v0
	s_mul_hi_u32 s24, s27, s24
	v_cvt_f32_u32_e32 v0, s20
	s_mul_i32 s25, s24, s21
	s_delay_alu instid0(SALU_CYCLE_1)
	s_sub_i32 s25, s27, s25
	s_add_i32 s27, s24, 1
	s_sub_i32 s28, s25, s21
	s_cmp_ge_u32 s25, s21
	v_rcp_iflag_f32_e32 v7, v0
	s_cselect_b32 s24, s27, s24
	s_cselect_b32 s25, s28, s25
	s_add_i32 s27, s24, 1
	s_cmp_ge_u32 s25, s21
	s_cselect_b32 s21, s27, s24
	s_delay_alu instid0(SALU_CYCLE_1) | instskip(SKIP_3) | instid1(VALU_DEP_1)
	v_mad_u64_u32 v[0:1], null, s21, s15, v[2:3]
	s_waitcnt_depctr 0xfff
	v_dual_mul_f32 v1, 0x4f7ffffe, v5 :: v_dual_mul_f32 v2, 0x4f7ffffe, v7
	s_mov_b32 s15, 0
	v_cvt_u32_f32_e32 v1, v1
	v_add_nc_u32_e32 v5, s21, v0
	s_delay_alu instid0(VALU_DEP_3) | instskip(SKIP_1) | instid1(VALU_DEP_3)
	v_cvt_u32_f32_e32 v2, v2
	s_mov_b32 s21, exec_lo
	v_readfirstlane_b32 s25, v1
	s_delay_alu instid0(VALU_DEP_3) | instskip(NEXT) | instid1(VALU_DEP_3)
	v_min_i32_e32 v5, s8, v5
	v_readfirstlane_b32 s24, v2
	s_delay_alu instid0(VALU_DEP_2)
	v_cmpx_lt_i32_e64 v0, v5
	s_cbranch_execz .LBB1_21
; %bb.4:
	s_sub_i32 s27, 0, s4
	s_sub_i32 s28, 0, s20
	s_mul_i32 s27, s27, s25
	s_mul_i32 s28, s28, s24
	s_mul_hi_u32 s27, s25, s27
	s_add_i32 s21, s9, -1
	s_add_i32 s25, s25, s27
	s_mul_hi_u32 s27, s24, s28
	s_mul_hi_u32 s25, s13, s25
	s_add_i32 s27, s24, s27
	s_mul_i32 s28, s25, s4
	s_add_i32 s30, s21, s20
	s_sub_i32 s24, s13, s28
	s_add_i32 s28, s25, 1
	s_sub_i32 s29, s24, s4
	s_cmp_ge_u32 s24, s4
	v_mul_lo_u32 v6, s11, v6
	s_cselect_b32 s25, s28, s25
	s_cselect_b32 s24, s29, s24
	s_add_i32 s28, s25, 1
	s_cmp_ge_u32 s24, s4
	s_mul_i32 s24, s8, s5
	s_cselect_b32 s31, s28, s25
	s_mul_i32 s24, s24, s9
	s_mul_i32 s4, s31, s4
	v_mul_lo_u32 v6, v6, s26
	s_sub_i32 s4, s13, s4
	v_lshlrev_b32_e32 v11, 2, v4
	s_mul_i32 s24, s24, s4
	s_mul_i32 s28, s4, s16
	s_ashr_i32 s25, s24, 31
	s_mul_i32 s11, s26, s10
	s_lshl_b64 s[24:25], s[24:25], 2
	s_delay_alu instid0(SALU_CYCLE_1)
	s_add_u32 s4, s2, s24
	s_addc_u32 s13, s3, s25
	s_ashr_i32 s29, s28, 31
	s_mul_hi_u32 s25, s30, s27
	s_lshl_b64 s[2:3], s[28:29], 2
	s_mul_i32 s27, s25, s20
	s_add_u32 s16, s0, s2
	s_addc_u32 s24, s1, s3
	s_sub_i32 s0, s30, s27
	s_add_i32 s1, s25, 1
	s_sub_i32 s2, s0, s20
	s_cmp_ge_u32 s0, s20
	s_cselect_b32 s1, s1, s25
	s_cselect_b32 s0, s2, s0
	s_add_i32 s2, s1, 1
	s_cmp_ge_u32 s0, s20
	s_cselect_b32 s0, s2, s1
	s_abs_i32 s20, s8
	s_abs_i32 s25, s9
	v_cvt_f32_u32_e32 v1, s20
	v_cvt_f32_u32_e32 v2, s25
	s_sub_i32 s1, 0, s20
	s_sub_i32 s2, 0, s25
	s_ashr_i32 s8, s8, 31
	v_rcp_iflag_f32_e32 v1, v1
	v_rcp_iflag_f32_e32 v2, v2
	s_waitcnt_depctr 0xfff
	v_dual_mul_f32 v1, 0x4f7ffffe, v1 :: v_dual_mul_f32 v2, 0x4f7ffffe, v2
	s_delay_alu instid0(VALU_DEP_1) | instskip(NEXT) | instid1(VALU_DEP_2)
	v_cvt_u32_f32_e32 v9, v1
	v_cvt_u32_f32_e32 v10, v2
	v_mad_u64_u32 v[1:2], null, s0, s14, v[3:4]
	v_mad_u64_u32 v[2:3], null, s31, s26, v[4:5]
	s_delay_alu instid0(VALU_DEP_4) | instskip(NEXT) | instid1(VALU_DEP_4)
	v_mul_lo_u32 v7, s1, v9
	v_mul_lo_u32 v8, s2, v10
	v_lshlrev_b32_e32 v4, 2, v6
	s_mul_i32 s14, s17, s10
	v_add_nc_u32_e32 v3, s0, v1
	s_ashr_i32 s10, s9, 31
	v_cmp_gt_i32_e64 s0, s5, v2
	s_mul_i32 s14, s14, s26
	v_mul_hi_u32 v12, v9, v7
	v_mul_hi_u32 v13, v10, v8
	v_min_i32_e32 v6, s9, v3
	v_mul_lo_u32 v8, s17, v2
	v_add3_u32 v7, v4, v11, 0
	v_mov_b32_e32 v11, 0
	s_lshl_b32 s17, s26, 2
	v_cmp_lt_i32_e64 s1, v1, v6
	v_add_nc_u32_e32 v9, v9, v12
	v_add_nc_u32_e32 v10, v10, v13
	s_branch .LBB1_6
.LBB1_5:                                ;   in Loop: Header=BB1_6 Depth=1
	s_or_b32 exec_lo, exec_lo, s26
	v_add_nc_u32_e32 v0, s22, v0
	s_delay_alu instid0(VALU_DEP_1) | instskip(SKIP_1) | instid1(SALU_CYCLE_1)
	v_cmp_ge_i32_e32 vcc_lo, v0, v5
	s_or_b32 s15, vcc_lo, s15
	s_and_not1_b32 exec_lo, exec_lo, s15
	s_cbranch_execz .LBB1_21
.LBB1_6:                                ; =>This Loop Header: Depth=1
                                        ;     Child Loop BB1_9 Depth 2
                                        ;       Child Loop BB1_12 Depth 3
                                        ;         Child Loop BB1_15 Depth 4
                                        ;           Child Loop BB1_17 Depth 5
                                        ;       Child Loop BB1_20 Depth 3
	s_delay_alu instid0(VALU_DEP_3)
	s_and_saveexec_b32 s26, s1
	s_cbranch_execz .LBB1_5
; %bb.7:                                ;   in Loop: Header=BB1_6 Depth=1
	v_mul_lo_u32 v3, v0, s6
	s_mov_b32 s27, 0
	s_delay_alu instid0(VALU_DEP_1) | instskip(SKIP_1) | instid1(VALU_DEP_2)
	v_add3_u32 v4, s23, s6, v3
	v_sub_nc_u32_e32 v12, 0, v3
	v_sub_nc_u32_e32 v13, 0, v4
	s_delay_alu instid0(VALU_DEP_2) | instskip(SKIP_1) | instid1(VALU_DEP_3)
	v_max_i32_e32 v12, v3, v12
	v_ashrrev_i32_e32 v3, 31, v3
	v_max_i32_e32 v13, v4, v13
	s_delay_alu instid0(VALU_DEP_3) | instskip(SKIP_1) | instid1(VALU_DEP_4)
	v_mul_hi_u32 v14, v12, v9
	v_ashrrev_i32_e32 v4, 31, v4
	v_xor_b32_e32 v3, s8, v3
	s_delay_alu instid0(VALU_DEP_4) | instskip(NEXT) | instid1(VALU_DEP_3)
	v_mul_hi_u32 v15, v13, v9
	v_xor_b32_e32 v4, s8, v4
	v_mul_lo_u32 v16, v14, s20
	s_delay_alu instid0(VALU_DEP_3) | instskip(NEXT) | instid1(VALU_DEP_2)
	v_mul_lo_u32 v17, v15, s20
	v_sub_nc_u32_e32 v12, v12, v16
	s_delay_alu instid0(VALU_DEP_2) | instskip(NEXT) | instid1(VALU_DEP_2)
	v_sub_nc_u32_e32 v13, v13, v17
	v_cmp_le_u32_e32 vcc_lo, s20, v12
	v_add_nc_u32_e32 v17, 1, v15
	s_delay_alu instid0(VALU_DEP_3) | instskip(SKIP_1) | instid1(VALU_DEP_2)
	v_cmp_le_u32_e64 s2, s20, v13
	v_subrev_nc_u32_e32 v18, s20, v13
	v_cndmask_b32_e64 v15, v15, v17, s2
	s_delay_alu instid0(VALU_DEP_2) | instskip(NEXT) | instid1(VALU_DEP_2)
	v_cndmask_b32_e64 v13, v13, v18, s2
	v_add_nc_u32_e32 v17, 1, v15
	v_add_nc_u32_e32 v16, 1, v14
	s_delay_alu instid0(VALU_DEP_1) | instskip(SKIP_1) | instid1(VALU_DEP_1)
	v_cndmask_b32_e32 v14, v14, v16, vcc_lo
	v_subrev_nc_u32_e32 v16, s20, v12
	v_cndmask_b32_e32 v12, v12, v16, vcc_lo
	s_delay_alu instid0(VALU_DEP_3) | instskip(NEXT) | instid1(VALU_DEP_2)
	v_add_nc_u32_e32 v16, 1, v14
	v_cmp_le_u32_e32 vcc_lo, s20, v12
	s_delay_alu instid0(VALU_DEP_2) | instskip(SKIP_3) | instid1(VALU_DEP_4)
	v_cndmask_b32_e32 v12, v14, v16, vcc_lo
	v_cmp_le_u32_e32 vcc_lo, s20, v13
	v_mul_lo_u32 v14, v0, s9
	v_mov_b32_e32 v16, v1
	v_xor_b32_e32 v12, v12, v3
	v_cndmask_b32_e32 v13, v15, v17, vcc_lo
	s_delay_alu instid0(VALU_DEP_2) | instskip(NEXT) | instid1(VALU_DEP_2)
	v_sub_nc_u32_e32 v12, v12, v3
	v_xor_b32_e32 v13, v13, v4
	s_delay_alu instid0(VALU_DEP_1) | instskip(NEXT) | instid1(VALU_DEP_1)
	v_sub_nc_u32_e32 v13, v13, v4
	v_sub_nc_u32_e32 v15, v13, v12
	v_cmp_gt_i32_e64 s2, v13, v12
	s_branch .LBB1_9
.LBB1_8:                                ;   in Loop: Header=BB1_9 Depth=2
	s_or_b32 exec_lo, exec_lo, s28
	v_add_nc_u32_e32 v16, s12, v16
	s_delay_alu instid0(VALU_DEP_1) | instskip(SKIP_1) | instid1(SALU_CYCLE_1)
	v_cmp_ge_i32_e32 vcc_lo, v16, v6
	s_or_b32 s27, vcc_lo, s27
	s_and_not1_b32 exec_lo, exec_lo, s27
	s_cbranch_execz .LBB1_5
.LBB1_9:                                ;   Parent Loop BB1_6 Depth=1
                                        ; =>  This Loop Header: Depth=2
                                        ;       Child Loop BB1_12 Depth 3
                                        ;         Child Loop BB1_15 Depth 4
                                        ;           Child Loop BB1_17 Depth 5
                                        ;       Child Loop BB1_20 Depth 3
	v_mul_lo_u32 v3, v16, s7
	s_delay_alu instid0(VALU_DEP_1) | instskip(SKIP_1) | instid1(VALU_DEP_2)
	v_add3_u32 v4, s21, s7, v3
	v_sub_nc_u32_e32 v17, 0, v3
	v_sub_nc_u32_e32 v18, 0, v4
	s_delay_alu instid0(VALU_DEP_2) | instskip(SKIP_1) | instid1(VALU_DEP_3)
	v_max_i32_e32 v17, v3, v17
	v_ashrrev_i32_e32 v3, 31, v3
	v_max_i32_e32 v18, v4, v18
	s_delay_alu instid0(VALU_DEP_3) | instskip(SKIP_1) | instid1(VALU_DEP_4)
	v_mul_hi_u32 v19, v17, v10
	v_ashrrev_i32_e32 v4, 31, v4
	v_xor_b32_e32 v3, s10, v3
	s_delay_alu instid0(VALU_DEP_4) | instskip(NEXT) | instid1(VALU_DEP_3)
	v_mul_hi_u32 v20, v18, v10
	v_xor_b32_e32 v4, s10, v4
	v_mul_lo_u32 v21, v19, s25
	s_delay_alu instid0(VALU_DEP_3) | instskip(NEXT) | instid1(VALU_DEP_2)
	v_mul_lo_u32 v22, v20, s25
	v_sub_nc_u32_e32 v17, v17, v21
	s_delay_alu instid0(VALU_DEP_2) | instskip(NEXT) | instid1(VALU_DEP_2)
	v_sub_nc_u32_e32 v18, v18, v22
	v_cmp_le_u32_e32 vcc_lo, s25, v17
	v_add_nc_u32_e32 v22, 1, v20
	s_delay_alu instid0(VALU_DEP_3) | instskip(SKIP_1) | instid1(VALU_DEP_2)
	v_cmp_le_u32_e64 s3, s25, v18
	v_subrev_nc_u32_e32 v23, s25, v18
	v_cndmask_b32_e64 v20, v20, v22, s3
	s_delay_alu instid0(VALU_DEP_2) | instskip(NEXT) | instid1(VALU_DEP_2)
	v_cndmask_b32_e64 v18, v18, v23, s3
	v_add_nc_u32_e32 v22, 1, v20
	v_add_nc_u32_e32 v21, 1, v19
	s_delay_alu instid0(VALU_DEP_1) | instskip(SKIP_1) | instid1(VALU_DEP_1)
	v_cndmask_b32_e32 v19, v19, v21, vcc_lo
	v_subrev_nc_u32_e32 v21, s25, v17
	v_cndmask_b32_e32 v17, v17, v21, vcc_lo
	s_delay_alu instid0(VALU_DEP_3) | instskip(NEXT) | instid1(VALU_DEP_2)
	v_add_nc_u32_e32 v21, 1, v19
	v_cmp_le_u32_e32 vcc_lo, s25, v17
	s_delay_alu instid0(VALU_DEP_2) | instskip(SKIP_1) | instid1(VALU_DEP_2)
	v_cndmask_b32_e32 v17, v19, v21, vcc_lo
	v_cmp_le_u32_e32 vcc_lo, s25, v18
	v_xor_b32_e32 v17, v17, v3
	v_cndmask_b32_e32 v18, v20, v22, vcc_lo
	s_delay_alu instid0(VALU_DEP_2) | instskip(NEXT) | instid1(VALU_DEP_2)
	v_sub_nc_u32_e32 v17, v17, v3
	v_xor_b32_e32 v18, v18, v4
	s_delay_alu instid0(VALU_DEP_1)
	v_sub_nc_u32_e32 v18, v18, v4
	s_and_saveexec_b32 s28, s2
	s_cbranch_execz .LBB1_18
; %bb.10:                               ;   in Loop: Header=BB1_9 Depth=2
	s_delay_alu instid0(VALU_DEP_1)
	v_cmp_gt_i32_e32 vcc_lo, v18, v17
	v_mov_b32_e32 v19, v12
	s_mov_b32 s29, 0
	s_branch .LBB1_12
.LBB1_11:                               ;   in Loop: Header=BB1_12 Depth=3
	s_set_inst_prefetch_distance 0x2
	s_or_b32 exec_lo, exec_lo, s30
	v_add_nc_u32_e32 v19, 1, v19
	s_delay_alu instid0(VALU_DEP_1) | instskip(NEXT) | instid1(VALU_DEP_1)
	v_cmp_ge_i32_e64 s3, v19, v13
	s_or_b32 s29, s3, s29
	s_delay_alu instid0(SALU_CYCLE_1)
	s_and_not1_b32 exec_lo, exec_lo, s29
	s_cbranch_execz .LBB1_18
.LBB1_12:                               ;   Parent Loop BB1_6 Depth=1
                                        ;     Parent Loop BB1_9 Depth=2
                                        ; =>    This Loop Header: Depth=3
                                        ;         Child Loop BB1_15 Depth 4
                                        ;           Child Loop BB1_17 Depth 5
	s_and_saveexec_b32 s30, vcc_lo
	s_cbranch_execz .LBB1_11
; %bb.13:                               ;   in Loop: Header=BB1_12 Depth=3
	v_mul_lo_u32 v3, v19, s18
	v_mov_b32_e32 v22, v17
	s_mov_b32 s31, 0
	s_delay_alu instid0(VALU_DEP_2) | instskip(NEXT) | instid1(VALU_DEP_1)
	v_ashrrev_i32_e32 v4, 31, v3
	v_lshlrev_b64 v[3:4], 2, v[3:4]
	s_delay_alu instid0(VALU_DEP_1) | instskip(NEXT) | instid1(VALU_DEP_1)
	v_add_co_u32 v20, s3, s16, v3
	v_add_co_ci_u32_e64 v21, s3, s24, v4, s3
	s_set_inst_prefetch_distance 0x1
	s_branch .LBB1_15
	.p2align	6
.LBB1_14:                               ;   in Loop: Header=BB1_15 Depth=4
	s_or_b32 exec_lo, exec_lo, s33
	v_add_nc_u32_e32 v22, 1, v22
	s_delay_alu instid0(VALU_DEP_1) | instskip(NEXT) | instid1(VALU_DEP_1)
	v_cmp_ge_i32_e64 s3, v22, v18
	s_or_b32 s31, s3, s31
	s_delay_alu instid0(SALU_CYCLE_1)
	s_and_not1_b32 exec_lo, exec_lo, s31
	s_cbranch_execz .LBB1_11
.LBB1_15:                               ;   Parent Loop BB1_6 Depth=1
                                        ;     Parent Loop BB1_9 Depth=2
                                        ;       Parent Loop BB1_12 Depth=3
                                        ; =>      This Loop Header: Depth=4
                                        ;           Child Loop BB1_17 Depth 5
	s_and_saveexec_b32 s33, s0
	s_cbranch_execz .LBB1_14
; %bb.16:                               ;   in Loop: Header=BB1_15 Depth=4
	v_mul_lo_u32 v3, v22, s19
	v_dual_mov_b32 v23, v7 :: v_dual_mov_b32 v26, v2
	s_mov_b32 s34, 0
	s_delay_alu instid0(VALU_DEP_2) | instskip(NEXT) | instid1(VALU_DEP_1)
	v_ashrrev_i32_e32 v4, 31, v3
	v_lshlrev_b64 v[24:25], 2, v[3:4]
	v_mov_b32_e32 v3, v8
	s_delay_alu instid0(VALU_DEP_2) | instskip(NEXT) | instid1(VALU_DEP_1)
	v_add_co_u32 v24, s3, v20, v24
	v_add_co_ci_u32_e64 v25, s3, v21, v25, s3
	.p2align	6
.LBB1_17:                               ;   Parent Loop BB1_6 Depth=1
                                        ;     Parent Loop BB1_9 Depth=2
                                        ;       Parent Loop BB1_12 Depth=3
                                        ;         Parent Loop BB1_15 Depth=4
                                        ; =>        This Inner Loop Header: Depth=5
	s_delay_alu instid0(VALU_DEP_3) | instskip(SKIP_1) | instid1(VALU_DEP_2)
	v_ashrrev_i32_e32 v4, 31, v3
	v_add_nc_u32_e32 v26, s11, v26
	v_lshlrev_b64 v[27:28], 2, v[3:4]
	v_add_nc_u32_e32 v3, s14, v3
	s_delay_alu instid0(VALU_DEP_2) | instskip(NEXT) | instid1(VALU_DEP_1)
	v_add_co_u32 v27, s3, v24, v27
	v_add_co_ci_u32_e64 v28, s3, v25, v28, s3
	v_cmp_le_i32_e64 s3, s5, v26
	global_load_b32 v4, v[27:28], off
	ds_load_b32 v27, v23
	s_or_b32 s34, s3, s34
	s_waitcnt vmcnt(0) lgkmcnt(0)
	v_add_f32_e32 v4, v4, v27
	ds_store_b32 v23, v4
	v_add_nc_u32_e32 v23, s17, v23
	s_and_not1_b32 exec_lo, exec_lo, s34
	s_cbranch_execnz .LBB1_17
	s_branch .LBB1_14
.LBB1_18:                               ;   in Loop: Header=BB1_9 Depth=2
	s_or_b32 exec_lo, exec_lo, s28
	s_and_saveexec_b32 s28, s0
	s_cbranch_execz .LBB1_8
; %bb.19:                               ;   in Loop: Header=BB1_9 Depth=2
	v_sub_nc_u32_e32 v3, v18, v17
	s_mov_b32 s29, 0
	s_delay_alu instid0(VALU_DEP_1) | instskip(NEXT) | instid1(VALU_DEP_1)
	v_mul_lo_u32 v3, v3, v15
	v_cvt_f32_i32_e32 v20, v3
	s_delay_alu instid0(VALU_DEP_1) | instskip(SKIP_1) | instid1(VALU_DEP_2)
	v_div_scale_f32 v17, null, v20, v20, 1.0
	v_div_scale_f32 v19, vcc_lo, 1.0, v20, 1.0
	v_rcp_f32_e32 v18, v17
	s_waitcnt_depctr 0xfff
	v_fma_f32 v3, -v17, v18, 1.0
	s_delay_alu instid0(VALU_DEP_1) | instskip(SKIP_1) | instid1(VALU_DEP_2)
	v_fmac_f32_e32 v18, v3, v18
	v_add_nc_u32_e32 v3, v16, v14
	v_mul_f32_e32 v21, v19, v18
	s_delay_alu instid0(VALU_DEP_2) | instskip(NEXT) | instid1(VALU_DEP_2)
	v_mul_lo_u32 v3, v3, s5
	v_fma_f32 v4, -v17, v21, v19
	s_delay_alu instid0(VALU_DEP_1) | instskip(NEXT) | instid1(VALU_DEP_3)
	v_fmac_f32_e32 v21, v4, v18
	v_ashrrev_i32_e32 v4, 31, v3
	s_delay_alu instid0(VALU_DEP_2) | instskip(NEXT) | instid1(VALU_DEP_2)
	v_fma_f32 v19, -v17, v21, v19
	v_lshlrev_b64 v[3:4], 2, v[3:4]
	v_mov_b32_e32 v17, v7
	s_delay_alu instid0(VALU_DEP_3) | instskip(NEXT) | instid1(VALU_DEP_3)
	v_div_fmas_f32 v21, v19, v18, v21
	v_add_co_u32 v18, vcc_lo, s4, v3
	v_mov_b32_e32 v3, v2
	v_add_co_ci_u32_e32 v19, vcc_lo, s13, v4, vcc_lo
	s_delay_alu instid0(VALU_DEP_4)
	v_div_fixup_f32 v20, v21, v20, 1.0
	.p2align	6
.LBB1_20:                               ;   Parent Loop BB1_6 Depth=1
                                        ;     Parent Loop BB1_9 Depth=2
                                        ; =>    This Inner Loop Header: Depth=3
	ds_load_b32 v23, v17
	v_ashrrev_i32_e32 v4, 31, v3
	ds_store_b32 v17, v11
	v_add_nc_u32_e32 v17, s17, v17
	v_lshlrev_b64 v[21:22], 2, v[3:4]
	v_add_nc_u32_e32 v3, s11, v3
	s_delay_alu instid0(VALU_DEP_1) | instskip(NEXT) | instid1(VALU_DEP_3)
	v_cmp_le_i32_e32 vcc_lo, s5, v3
	v_add_co_u32 v21, s3, v18, v21
	s_delay_alu instid0(VALU_DEP_1)
	v_add_co_ci_u32_e64 v22, s3, v19, v22, s3
	s_or_b32 s29, vcc_lo, s29
	s_waitcnt lgkmcnt(1)
	v_mul_f32_e32 v4, v20, v23
	global_store_b32 v[21:22], v4, off
	s_and_not1_b32 exec_lo, exec_lo, s29
	s_cbranch_execnz .LBB1_20
	s_branch .LBB1_8
.LBB1_21:
	s_nop 0
	s_sendmsg sendmsg(MSG_DEALLOC_VGPRS)
	s_endpgm
	.section	.rodata,"a",@progbits
	.p2align	6, 0x0
	.amdhsa_kernel _ZN2at6native12_GLOBAL__N_126adaptive_average_pool_nhwcIifEEvPKT0_PS3_iiiiiiiiT_S7_S7_S7_
		.amdhsa_group_segment_fixed_size 0
		.amdhsa_private_segment_fixed_size 0
		.amdhsa_kernarg_size 320
		.amdhsa_user_sgpr_count 13
		.amdhsa_user_sgpr_dispatch_ptr 0
		.amdhsa_user_sgpr_queue_ptr 0
		.amdhsa_user_sgpr_kernarg_segment_ptr 1
		.amdhsa_user_sgpr_dispatch_id 0
		.amdhsa_user_sgpr_private_segment_size 0
		.amdhsa_wavefront_size32 1
		.amdhsa_uses_dynamic_stack 0
		.amdhsa_enable_private_segment 0
		.amdhsa_system_sgpr_workgroup_id_x 1
		.amdhsa_system_sgpr_workgroup_id_y 1
		.amdhsa_system_sgpr_workgroup_id_z 1
		.amdhsa_system_sgpr_workgroup_info 0
		.amdhsa_system_vgpr_workitem_id 2
		.amdhsa_next_free_vgpr 29
		.amdhsa_next_free_sgpr 35
		.amdhsa_reserve_vcc 1
		.amdhsa_float_round_mode_32 0
		.amdhsa_float_round_mode_16_64 0
		.amdhsa_float_denorm_mode_32 3
		.amdhsa_float_denorm_mode_16_64 3
		.amdhsa_dx10_clamp 1
		.amdhsa_ieee_mode 1
		.amdhsa_fp16_overflow 0
		.amdhsa_workgroup_processor_mode 1
		.amdhsa_memory_ordered 1
		.amdhsa_forward_progress 0
		.amdhsa_shared_vgpr_count 0
		.amdhsa_exception_fp_ieee_invalid_op 0
		.amdhsa_exception_fp_denorm_src 0
		.amdhsa_exception_fp_ieee_div_zero 0
		.amdhsa_exception_fp_ieee_overflow 0
		.amdhsa_exception_fp_ieee_underflow 0
		.amdhsa_exception_fp_ieee_inexact 0
		.amdhsa_exception_int_div_zero 0
	.end_amdhsa_kernel
	.section	.text._ZN2at6native12_GLOBAL__N_126adaptive_average_pool_nhwcIifEEvPKT0_PS3_iiiiiiiiT_S7_S7_S7_,"axG",@progbits,_ZN2at6native12_GLOBAL__N_126adaptive_average_pool_nhwcIifEEvPKT0_PS3_iiiiiiiiT_S7_S7_S7_,comdat
.Lfunc_end1:
	.size	_ZN2at6native12_GLOBAL__N_126adaptive_average_pool_nhwcIifEEvPKT0_PS3_iiiiiiiiT_S7_S7_S7_, .Lfunc_end1-_ZN2at6native12_GLOBAL__N_126adaptive_average_pool_nhwcIifEEvPKT0_PS3_iiiiiiiiT_S7_S7_S7_
                                        ; -- End function
	.section	.AMDGPU.csdata,"",@progbits
; Kernel info:
; codeLenInByte = 2028
; NumSgprs: 37
; NumVgprs: 29
; ScratchSize: 0
; MemoryBound: 0
; FloatMode: 240
; IeeeMode: 1
; LDSByteSize: 0 bytes/workgroup (compile time only)
; SGPRBlocks: 4
; VGPRBlocks: 3
; NumSGPRsForWavesPerEU: 37
; NumVGPRsForWavesPerEU: 29
; Occupancy: 16
; WaveLimiterHint : 0
; COMPUTE_PGM_RSRC2:SCRATCH_EN: 0
; COMPUTE_PGM_RSRC2:USER_SGPR: 13
; COMPUTE_PGM_RSRC2:TRAP_HANDLER: 0
; COMPUTE_PGM_RSRC2:TGID_X_EN: 1
; COMPUTE_PGM_RSRC2:TGID_Y_EN: 1
; COMPUTE_PGM_RSRC2:TGID_Z_EN: 1
; COMPUTE_PGM_RSRC2:TIDIG_COMP_CNT: 2
	.section	.text._ZN2at6native12_GLOBAL__N_126adaptive_average_pool_nhwcIiN3c104HalfEEEvPKT0_PS5_iiiiiiiiT_S9_S9_S9_,"axG",@progbits,_ZN2at6native12_GLOBAL__N_126adaptive_average_pool_nhwcIiN3c104HalfEEEvPKT0_PS5_iiiiiiiiT_S9_S9_S9_,comdat
	.globl	_ZN2at6native12_GLOBAL__N_126adaptive_average_pool_nhwcIiN3c104HalfEEEvPKT0_PS5_iiiiiiiiT_S9_S9_S9_ ; -- Begin function _ZN2at6native12_GLOBAL__N_126adaptive_average_pool_nhwcIiN3c104HalfEEEvPKT0_PS5_iiiiiiiiT_S9_S9_S9_
	.p2align	8
	.type	_ZN2at6native12_GLOBAL__N_126adaptive_average_pool_nhwcIiN3c104HalfEEEvPKT0_PS5_iiiiiiiiT_S9_S9_S9_,@function
_ZN2at6native12_GLOBAL__N_126adaptive_average_pool_nhwcIiN3c104HalfEEEvPKT0_PS5_iiiiiiiiT_S9_S9_S9_: ; @_ZN2at6native12_GLOBAL__N_126adaptive_average_pool_nhwcIiN3c104HalfEEEvPKT0_PS5_iiiiiiiiT_S9_S9_S9_
; %bb.0:
	s_clause 0x3
	s_load_b128 s[20:23], s[0:1], 0x44
	s_load_b256 s[4:11], s[0:1], 0x10
	s_load_b128 s[16:19], s[0:1], 0x30
	s_load_b128 s[0:3], s[0:1], 0x0
	v_bfe_u32 v3, v0, 10, 10
	v_bfe_u32 v2, v0, 20, 10
	v_and_b32_e32 v4, 0x3ff, v0
	s_waitcnt lgkmcnt(0)
	s_lshr_b32 s12, s22, 16
	s_and_b32 s26, s22, 0xffff
	v_mad_u32_u24 v6, v2, s12, v3
	s_mul_i32 s24, s26, s11
	s_and_b32 s22, s23, 0xffff
	s_mul_i32 s23, s24, s12
	s_mov_b32 s24, exec_lo
	v_mad_u64_u32 v[0:1], null, v6, s26, v[4:5]
	s_mul_i32 s23, s23, s22
	s_delay_alu instid0(VALU_DEP_1) | instid1(SALU_CYCLE_1)
	v_cmpx_gt_u32_e64 s23, v0
	s_cbranch_execz .LBB2_3
; %bb.1:
	s_mul_i32 s25, s12, s26
	v_lshl_add_u32 v1, v0, 2, 0
	v_mov_b32_e32 v5, 0
	s_mul_i32 s25, s25, s22
	s_mov_b32 s27, 0
	s_lshl_b32 s28, s25, 2
.LBB2_2:                                ; =>This Inner Loop Header: Depth=1
	v_add_nc_u32_e32 v0, s25, v0
	ds_store_b32 v1, v5
	v_add_nc_u32_e32 v1, s28, v1
	v_cmp_le_u32_e32 vcc_lo, s23, v0
	s_or_b32 s27, vcc_lo, s27
	s_delay_alu instid0(SALU_CYCLE_1)
	s_and_not1_b32 exec_lo, exec_lo, s27
	s_cbranch_execnz .LBB2_2
.LBB2_3:
	s_or_b32 exec_lo, exec_lo, s24
	v_cvt_f32_u32_e32 v0, s21
	s_sub_i32 s23, 0, s21
	s_waitcnt lgkmcnt(0)
	s_barrier
	buffer_gl0_inv
	v_rcp_iflag_f32_e32 v0, v0
	s_waitcnt_depctr 0xfff
	v_mul_f32_e32 v0, 0x4f7ffffe, v0
	s_delay_alu instid0(VALU_DEP_1) | instskip(NEXT) | instid1(VALU_DEP_1)
	v_cvt_u32_f32_e32 v0, v0
	v_readfirstlane_b32 s24, v0
	v_cvt_f32_u32_e32 v0, s4
	s_delay_alu instid0(VALU_DEP_2)
	s_mul_i32 s25, s23, s24
	s_add_i32 s23, s8, -1
	s_mul_hi_u32 s25, s24, s25
	s_add_i32 s27, s23, s21
	s_add_i32 s24, s24, s25
	v_rcp_iflag_f32_e32 v5, v0
	s_mul_hi_u32 s24, s27, s24
	v_cvt_f32_u32_e32 v0, s20
	s_mul_i32 s25, s24, s21
	s_delay_alu instid0(SALU_CYCLE_1)
	s_sub_i32 s25, s27, s25
	s_add_i32 s27, s24, 1
	s_sub_i32 s28, s25, s21
	s_cmp_ge_u32 s25, s21
	v_rcp_iflag_f32_e32 v7, v0
	s_cselect_b32 s24, s27, s24
	s_cselect_b32 s25, s28, s25
	s_add_i32 s27, s24, 1
	s_cmp_ge_u32 s25, s21
	s_cselect_b32 s21, s27, s24
	s_delay_alu instid0(SALU_CYCLE_1) | instskip(SKIP_3) | instid1(VALU_DEP_1)
	v_mad_u64_u32 v[0:1], null, s21, s15, v[2:3]
	s_waitcnt_depctr 0xfff
	v_dual_mul_f32 v1, 0x4f7ffffe, v5 :: v_dual_mul_f32 v2, 0x4f7ffffe, v7
	s_mov_b32 s15, 0
	v_cvt_u32_f32_e32 v1, v1
	v_add_nc_u32_e32 v5, s21, v0
	s_delay_alu instid0(VALU_DEP_3) | instskip(SKIP_1) | instid1(VALU_DEP_3)
	v_cvt_u32_f32_e32 v2, v2
	s_mov_b32 s21, exec_lo
	v_readfirstlane_b32 s25, v1
	s_delay_alu instid0(VALU_DEP_3) | instskip(NEXT) | instid1(VALU_DEP_3)
	v_min_i32_e32 v5, s8, v5
	v_readfirstlane_b32 s24, v2
	s_delay_alu instid0(VALU_DEP_2)
	v_cmpx_lt_i32_e64 v0, v5
	s_cbranch_execz .LBB2_21
; %bb.4:
	s_sub_i32 s27, 0, s4
	s_sub_i32 s28, 0, s20
	s_mul_i32 s27, s27, s25
	s_mul_i32 s28, s28, s24
	s_mul_hi_u32 s27, s25, s27
	s_add_i32 s21, s9, -1
	s_add_i32 s25, s25, s27
	s_mul_hi_u32 s27, s24, s28
	s_mul_hi_u32 s25, s13, s25
	s_add_i32 s27, s24, s27
	s_mul_i32 s28, s25, s4
	s_add_i32 s30, s21, s20
	s_sub_i32 s24, s13, s28
	s_add_i32 s28, s25, 1
	s_sub_i32 s29, s24, s4
	s_cmp_ge_u32 s24, s4
	v_mul_lo_u32 v6, s11, v6
	s_cselect_b32 s25, s28, s25
	s_cselect_b32 s24, s29, s24
	s_add_i32 s28, s25, 1
	s_cmp_ge_u32 s24, s4
	s_mul_i32 s24, s8, s5
	s_cselect_b32 s31, s28, s25
	s_mul_i32 s24, s24, s9
	s_mul_i32 s4, s31, s4
	v_mul_lo_u32 v6, v6, s26
	s_sub_i32 s4, s13, s4
	v_lshlrev_b32_e32 v11, 2, v4
	s_mul_i32 s24, s24, s4
	s_mul_i32 s28, s4, s16
	s_ashr_i32 s25, s24, 31
	s_mul_i32 s11, s26, s10
	s_lshl_b64 s[24:25], s[24:25], 1
	s_delay_alu instid0(SALU_CYCLE_1)
	s_add_u32 s4, s2, s24
	s_addc_u32 s13, s3, s25
	s_ashr_i32 s29, s28, 31
	s_mul_hi_u32 s25, s30, s27
	s_lshl_b64 s[2:3], s[28:29], 1
	s_mul_i32 s27, s25, s20
	s_add_u32 s16, s0, s2
	s_addc_u32 s24, s1, s3
	s_sub_i32 s0, s30, s27
	s_add_i32 s1, s25, 1
	s_sub_i32 s2, s0, s20
	s_cmp_ge_u32 s0, s20
	s_cselect_b32 s1, s1, s25
	s_cselect_b32 s0, s2, s0
	s_add_i32 s2, s1, 1
	s_cmp_ge_u32 s0, s20
	s_cselect_b32 s0, s2, s1
	s_abs_i32 s20, s8
	s_abs_i32 s25, s9
	v_cvt_f32_u32_e32 v1, s20
	v_cvt_f32_u32_e32 v2, s25
	s_sub_i32 s1, 0, s20
	s_sub_i32 s2, 0, s25
	s_ashr_i32 s8, s8, 31
	v_rcp_iflag_f32_e32 v1, v1
	v_rcp_iflag_f32_e32 v2, v2
	s_waitcnt_depctr 0xfff
	v_dual_mul_f32 v1, 0x4f7ffffe, v1 :: v_dual_mul_f32 v2, 0x4f7ffffe, v2
	s_delay_alu instid0(VALU_DEP_1) | instskip(NEXT) | instid1(VALU_DEP_2)
	v_cvt_u32_f32_e32 v9, v1
	v_cvt_u32_f32_e32 v10, v2
	v_mad_u64_u32 v[1:2], null, s0, s14, v[3:4]
	v_mad_u64_u32 v[2:3], null, s31, s26, v[4:5]
	s_delay_alu instid0(VALU_DEP_4) | instskip(NEXT) | instid1(VALU_DEP_4)
	v_mul_lo_u32 v7, s1, v9
	v_mul_lo_u32 v8, s2, v10
	v_lshlrev_b32_e32 v4, 2, v6
	s_mul_i32 s14, s17, s10
	v_add_nc_u32_e32 v3, s0, v1
	s_ashr_i32 s10, s9, 31
	v_cmp_gt_i32_e32 vcc_lo, s5, v2
	s_mul_i32 s14, s14, s26
	v_mul_hi_u32 v12, v9, v7
	v_mul_hi_u32 v13, v10, v8
	v_min_i32_e32 v6, s9, v3
	v_mul_lo_u32 v8, s17, v2
	v_add3_u32 v7, v4, v11, 0
	v_mov_b32_e32 v11, 0
	s_lshl_b32 s17, s26, 2
	v_cmp_lt_i32_e64 s0, v1, v6
	v_add_nc_u32_e32 v9, v9, v12
	v_add_nc_u32_e32 v10, v10, v13
	s_branch .LBB2_6
.LBB2_5:                                ;   in Loop: Header=BB2_6 Depth=1
	s_or_b32 exec_lo, exec_lo, s26
	v_add_nc_u32_e32 v0, s22, v0
	s_delay_alu instid0(VALU_DEP_1) | instskip(NEXT) | instid1(VALU_DEP_1)
	v_cmp_ge_i32_e64 s1, v0, v5
	s_or_b32 s15, s1, s15
	s_delay_alu instid0(SALU_CYCLE_1)
	s_and_not1_b32 exec_lo, exec_lo, s15
	s_cbranch_execz .LBB2_21
.LBB2_6:                                ; =>This Loop Header: Depth=1
                                        ;     Child Loop BB2_9 Depth 2
                                        ;       Child Loop BB2_12 Depth 3
                                        ;         Child Loop BB2_15 Depth 4
                                        ;           Child Loop BB2_17 Depth 5
                                        ;       Child Loop BB2_20 Depth 3
	s_delay_alu instid0(VALU_DEP_3)
	s_and_saveexec_b32 s26, s0
	s_cbranch_execz .LBB2_5
; %bb.7:                                ;   in Loop: Header=BB2_6 Depth=1
	v_mul_lo_u32 v3, v0, s6
	s_mov_b32 s27, 0
	s_delay_alu instid0(VALU_DEP_1) | instskip(SKIP_1) | instid1(VALU_DEP_2)
	v_sub_nc_u32_e32 v12, 0, v3
	v_add3_u32 v4, s23, s6, v3
	v_max_i32_e32 v12, v3, v12
	s_delay_alu instid0(VALU_DEP_2) | instskip(SKIP_1) | instid1(VALU_DEP_3)
	v_sub_nc_u32_e32 v13, 0, v4
	v_ashrrev_i32_e32 v3, 31, v3
	v_mul_hi_u32 v14, v12, v9
	s_delay_alu instid0(VALU_DEP_3) | instskip(SKIP_1) | instid1(VALU_DEP_4)
	v_max_i32_e32 v13, v4, v13
	v_ashrrev_i32_e32 v4, 31, v4
	v_xor_b32_e32 v3, s8, v3
	s_delay_alu instid0(VALU_DEP_3) | instskip(NEXT) | instid1(VALU_DEP_3)
	v_mul_hi_u32 v15, v13, v9
	v_xor_b32_e32 v4, s8, v4
	v_mul_lo_u32 v16, v14, s20
	s_delay_alu instid0(VALU_DEP_3) | instskip(NEXT) | instid1(VALU_DEP_2)
	v_mul_lo_u32 v17, v15, s20
	v_sub_nc_u32_e32 v12, v12, v16
	v_add_nc_u32_e32 v16, 1, v14
	s_delay_alu instid0(VALU_DEP_2) | instskip(NEXT) | instid1(VALU_DEP_4)
	v_cmp_le_u32_e64 s1, s20, v12
	v_sub_nc_u32_e32 v13, v13, v17
	v_add_nc_u32_e32 v17, 1, v15
	s_delay_alu instid0(VALU_DEP_3) | instskip(SKIP_1) | instid1(VALU_DEP_4)
	v_cndmask_b32_e64 v14, v14, v16, s1
	v_subrev_nc_u32_e32 v16, s20, v12
	v_subrev_nc_u32_e32 v18, s20, v13
	v_cmp_le_u32_e64 s2, s20, v13
	s_delay_alu instid0(VALU_DEP_3) | instskip(SKIP_1) | instid1(VALU_DEP_3)
	v_cndmask_b32_e64 v12, v12, v16, s1
	v_add_nc_u32_e32 v16, 1, v14
	v_cndmask_b32_e64 v13, v13, v18, s2
	s_delay_alu instid0(VALU_DEP_3) | instskip(NEXT) | instid1(VALU_DEP_1)
	v_cmp_le_u32_e64 s1, s20, v12
	v_cndmask_b32_e64 v12, v14, v16, s1
	v_mov_b32_e32 v16, v1
	v_cndmask_b32_e64 v15, v15, v17, s2
	v_cmp_le_u32_e64 s1, s20, v13
	v_mul_lo_u32 v14, v0, s9
	v_xor_b32_e32 v12, v12, v3
	s_delay_alu instid0(VALU_DEP_4) | instskip(NEXT) | instid1(VALU_DEP_2)
	v_add_nc_u32_e32 v17, 1, v15
	v_sub_nc_u32_e32 v12, v12, v3
	s_delay_alu instid0(VALU_DEP_2) | instskip(NEXT) | instid1(VALU_DEP_1)
	v_cndmask_b32_e64 v13, v15, v17, s1
	v_xor_b32_e32 v13, v13, v4
	s_delay_alu instid0(VALU_DEP_1) | instskip(NEXT) | instid1(VALU_DEP_1)
	v_sub_nc_u32_e32 v13, v13, v4
	v_sub_nc_u32_e32 v15, v13, v12
	v_cmp_gt_i32_e64 s1, v13, v12
	s_branch .LBB2_9
.LBB2_8:                                ;   in Loop: Header=BB2_9 Depth=2
	s_or_b32 exec_lo, exec_lo, s28
	v_add_nc_u32_e32 v16, s12, v16
	s_delay_alu instid0(VALU_DEP_1) | instskip(NEXT) | instid1(VALU_DEP_1)
	v_cmp_ge_i32_e64 s2, v16, v6
	s_or_b32 s27, s2, s27
	s_delay_alu instid0(SALU_CYCLE_1)
	s_and_not1_b32 exec_lo, exec_lo, s27
	s_cbranch_execz .LBB2_5
.LBB2_9:                                ;   Parent Loop BB2_6 Depth=1
                                        ; =>  This Loop Header: Depth=2
                                        ;       Child Loop BB2_12 Depth 3
                                        ;         Child Loop BB2_15 Depth 4
                                        ;           Child Loop BB2_17 Depth 5
                                        ;       Child Loop BB2_20 Depth 3
	v_mul_lo_u32 v3, v16, s7
	s_delay_alu instid0(VALU_DEP_1) | instskip(SKIP_1) | instid1(VALU_DEP_2)
	v_sub_nc_u32_e32 v17, 0, v3
	v_add3_u32 v4, s21, s7, v3
	v_max_i32_e32 v17, v3, v17
	s_delay_alu instid0(VALU_DEP_2) | instskip(SKIP_1) | instid1(VALU_DEP_3)
	v_sub_nc_u32_e32 v18, 0, v4
	v_ashrrev_i32_e32 v3, 31, v3
	v_mul_hi_u32 v19, v17, v10
	s_delay_alu instid0(VALU_DEP_3) | instskip(SKIP_1) | instid1(VALU_DEP_4)
	v_max_i32_e32 v18, v4, v18
	v_ashrrev_i32_e32 v4, 31, v4
	v_xor_b32_e32 v3, s10, v3
	s_delay_alu instid0(VALU_DEP_3) | instskip(NEXT) | instid1(VALU_DEP_3)
	v_mul_hi_u32 v20, v18, v10
	v_xor_b32_e32 v4, s10, v4
	v_mul_lo_u32 v21, v19, s25
	s_delay_alu instid0(VALU_DEP_3) | instskip(NEXT) | instid1(VALU_DEP_2)
	v_mul_lo_u32 v22, v20, s25
	v_sub_nc_u32_e32 v17, v17, v21
	v_add_nc_u32_e32 v21, 1, v19
	s_delay_alu instid0(VALU_DEP_2) | instskip(NEXT) | instid1(VALU_DEP_4)
	v_cmp_le_u32_e64 s2, s25, v17
	v_sub_nc_u32_e32 v18, v18, v22
	v_add_nc_u32_e32 v22, 1, v20
	s_delay_alu instid0(VALU_DEP_3) | instskip(SKIP_1) | instid1(VALU_DEP_4)
	v_cndmask_b32_e64 v19, v19, v21, s2
	v_subrev_nc_u32_e32 v21, s25, v17
	v_subrev_nc_u32_e32 v23, s25, v18
	v_cmp_le_u32_e64 s3, s25, v18
	s_delay_alu instid0(VALU_DEP_3) | instskip(SKIP_1) | instid1(VALU_DEP_3)
	v_cndmask_b32_e64 v17, v17, v21, s2
	v_add_nc_u32_e32 v21, 1, v19
	v_cndmask_b32_e64 v20, v20, v22, s3
	v_cndmask_b32_e64 v18, v18, v23, s3
	s_delay_alu instid0(VALU_DEP_4) | instskip(NEXT) | instid1(VALU_DEP_3)
	v_cmp_le_u32_e64 s2, s25, v17
	v_add_nc_u32_e32 v22, 1, v20
	s_delay_alu instid0(VALU_DEP_2) | instskip(NEXT) | instid1(VALU_DEP_4)
	v_cndmask_b32_e64 v17, v19, v21, s2
	v_cmp_le_u32_e64 s2, s25, v18
	s_delay_alu instid0(VALU_DEP_2) | instskip(NEXT) | instid1(VALU_DEP_2)
	v_xor_b32_e32 v17, v17, v3
	v_cndmask_b32_e64 v18, v20, v22, s2
	s_delay_alu instid0(VALU_DEP_2) | instskip(NEXT) | instid1(VALU_DEP_2)
	v_sub_nc_u32_e32 v17, v17, v3
	v_xor_b32_e32 v18, v18, v4
	s_delay_alu instid0(VALU_DEP_1)
	v_sub_nc_u32_e32 v18, v18, v4
	s_and_saveexec_b32 s28, s1
	s_cbranch_execz .LBB2_18
; %bb.10:                               ;   in Loop: Header=BB2_9 Depth=2
	s_delay_alu instid0(VALU_DEP_1)
	v_cmp_gt_i32_e64 s2, v18, v17
	v_mov_b32_e32 v19, v12
	s_mov_b32 s29, 0
	s_branch .LBB2_12
.LBB2_11:                               ;   in Loop: Header=BB2_12 Depth=3
	s_set_inst_prefetch_distance 0x2
	s_or_b32 exec_lo, exec_lo, s30
	v_add_nc_u32_e32 v19, 1, v19
	s_delay_alu instid0(VALU_DEP_1) | instskip(NEXT) | instid1(VALU_DEP_1)
	v_cmp_ge_i32_e64 s3, v19, v13
	s_or_b32 s29, s3, s29
	s_delay_alu instid0(SALU_CYCLE_1)
	s_and_not1_b32 exec_lo, exec_lo, s29
	s_cbranch_execz .LBB2_18
.LBB2_12:                               ;   Parent Loop BB2_6 Depth=1
                                        ;     Parent Loop BB2_9 Depth=2
                                        ; =>    This Loop Header: Depth=3
                                        ;         Child Loop BB2_15 Depth 4
                                        ;           Child Loop BB2_17 Depth 5
	s_delay_alu instid0(VALU_DEP_2)
	s_and_saveexec_b32 s30, s2
	s_cbranch_execz .LBB2_11
; %bb.13:                               ;   in Loop: Header=BB2_12 Depth=3
	v_mul_lo_u32 v3, v19, s18
	v_mov_b32_e32 v22, v17
	s_mov_b32 s31, 0
	s_delay_alu instid0(VALU_DEP_2) | instskip(NEXT) | instid1(VALU_DEP_1)
	v_ashrrev_i32_e32 v4, 31, v3
	v_lshlrev_b64 v[3:4], 1, v[3:4]
	s_delay_alu instid0(VALU_DEP_1) | instskip(NEXT) | instid1(VALU_DEP_1)
	v_add_co_u32 v20, s3, s16, v3
	v_add_co_ci_u32_e64 v21, s3, s24, v4, s3
	s_set_inst_prefetch_distance 0x1
	s_branch .LBB2_15
	.p2align	6
.LBB2_14:                               ;   in Loop: Header=BB2_15 Depth=4
	s_or_b32 exec_lo, exec_lo, s33
	v_add_nc_u32_e32 v22, 1, v22
	s_delay_alu instid0(VALU_DEP_1) | instskip(NEXT) | instid1(VALU_DEP_1)
	v_cmp_ge_i32_e64 s3, v22, v18
	s_or_b32 s31, s3, s31
	s_delay_alu instid0(SALU_CYCLE_1)
	s_and_not1_b32 exec_lo, exec_lo, s31
	s_cbranch_execz .LBB2_11
.LBB2_15:                               ;   Parent Loop BB2_6 Depth=1
                                        ;     Parent Loop BB2_9 Depth=2
                                        ;       Parent Loop BB2_12 Depth=3
                                        ; =>      This Loop Header: Depth=4
                                        ;           Child Loop BB2_17 Depth 5
	s_and_saveexec_b32 s33, vcc_lo
	s_cbranch_execz .LBB2_14
; %bb.16:                               ;   in Loop: Header=BB2_15 Depth=4
	v_mul_lo_u32 v3, v22, s19
	v_dual_mov_b32 v23, v7 :: v_dual_mov_b32 v26, v2
	s_mov_b32 s34, 0
	s_delay_alu instid0(VALU_DEP_2) | instskip(NEXT) | instid1(VALU_DEP_1)
	v_ashrrev_i32_e32 v4, 31, v3
	v_lshlrev_b64 v[24:25], 1, v[3:4]
	v_mov_b32_e32 v3, v8
	s_delay_alu instid0(VALU_DEP_2) | instskip(NEXT) | instid1(VALU_DEP_1)
	v_add_co_u32 v24, s3, v20, v24
	v_add_co_ci_u32_e64 v25, s3, v21, v25, s3
	.p2align	6
.LBB2_17:                               ;   Parent Loop BB2_6 Depth=1
                                        ;     Parent Loop BB2_9 Depth=2
                                        ;       Parent Loop BB2_12 Depth=3
                                        ;         Parent Loop BB2_15 Depth=4
                                        ; =>        This Inner Loop Header: Depth=5
	s_delay_alu instid0(VALU_DEP_3) | instskip(SKIP_1) | instid1(VALU_DEP_2)
	v_ashrrev_i32_e32 v4, 31, v3
	v_add_nc_u32_e32 v26, s11, v26
	v_lshlrev_b64 v[27:28], 1, v[3:4]
	v_add_nc_u32_e32 v3, s14, v3
	s_delay_alu instid0(VALU_DEP_2) | instskip(NEXT) | instid1(VALU_DEP_1)
	v_add_co_u32 v27, s3, v24, v27
	v_add_co_ci_u32_e64 v28, s3, v25, v28, s3
	v_cmp_le_i32_e64 s3, s5, v26
	global_load_u16 v4, v[27:28], off
	ds_load_b32 v27, v23
	s_or_b32 s34, s3, s34
	s_waitcnt vmcnt(0)
	v_cvt_f32_f16_e32 v4, v4
	s_waitcnt lgkmcnt(0)
	s_delay_alu instid0(VALU_DEP_1)
	v_add_f32_e32 v4, v27, v4
	ds_store_b32 v23, v4
	v_add_nc_u32_e32 v23, s17, v23
	s_and_not1_b32 exec_lo, exec_lo, s34
	s_cbranch_execnz .LBB2_17
	s_branch .LBB2_14
.LBB2_18:                               ;   in Loop: Header=BB2_9 Depth=2
	s_or_b32 exec_lo, exec_lo, s28
	s_and_saveexec_b32 s28, vcc_lo
	s_cbranch_execz .LBB2_8
; %bb.19:                               ;   in Loop: Header=BB2_9 Depth=2
	v_sub_nc_u32_e32 v3, v18, v17
	s_mov_b32 s29, 0
	s_delay_alu instid0(VALU_DEP_1) | instskip(SKIP_1) | instid1(VALU_DEP_1)
	v_mul_lo_u32 v4, v3, v15
	v_add_nc_u32_e32 v3, v16, v14
	v_mul_lo_u32 v3, v3, s5
	s_delay_alu instid0(VALU_DEP_3) | instskip(NEXT) | instid1(VALU_DEP_1)
	v_cvt_f32_i32_e32 v4, v4
	v_cvt_f16_f32_e32 v17, v4
	s_delay_alu instid0(VALU_DEP_3) | instskip(NEXT) | instid1(VALU_DEP_2)
	v_ashrrev_i32_e32 v4, 31, v3
	v_rcp_f16_e32 v20, v17
	s_delay_alu instid0(VALU_DEP_1) | instskip(SKIP_1) | instid1(VALU_DEP_2)
	v_lshlrev_b64 v[3:4], 1, v[3:4]
	v_mov_b32_e32 v17, v7
	v_add_co_u32 v18, s2, s4, v3
	s_delay_alu instid0(VALU_DEP_1)
	v_add_co_ci_u32_e64 v19, s2, s13, v4, s2
	s_waitcnt_depctr 0xfff
	v_cvt_f32_f16_e32 v20, v20
	v_mov_b32_e32 v3, v2
	.p2align	6
.LBB2_20:                               ;   Parent Loop BB2_6 Depth=1
                                        ;     Parent Loop BB2_9 Depth=2
                                        ; =>    This Inner Loop Header: Depth=3
	ds_load_b32 v23, v17
	v_ashrrev_i32_e32 v4, 31, v3
	ds_store_b32 v17, v11
	v_add_nc_u32_e32 v17, s17, v17
	v_lshlrev_b64 v[21:22], 1, v[3:4]
	v_add_nc_u32_e32 v3, s11, v3
	s_delay_alu instid0(VALU_DEP_1) | instskip(NEXT) | instid1(VALU_DEP_3)
	v_cmp_le_i32_e64 s2, s5, v3
	v_add_co_u32 v21, s3, v18, v21
	s_delay_alu instid0(VALU_DEP_1) | instskip(NEXT) | instid1(VALU_DEP_3)
	v_add_co_ci_u32_e64 v22, s3, v19, v22, s3
	s_or_b32 s29, s2, s29
	s_waitcnt lgkmcnt(1)
	v_fma_mixlo_f16 v4, v23, v20, 0
	global_store_b16 v[21:22], v4, off
	s_and_not1_b32 exec_lo, exec_lo, s29
	s_cbranch_execnz .LBB2_20
	s_branch .LBB2_8
.LBB2_21:
	s_nop 0
	s_sendmsg sendmsg(MSG_DEALLOC_VGPRS)
	s_endpgm
	.section	.rodata,"a",@progbits
	.p2align	6, 0x0
	.amdhsa_kernel _ZN2at6native12_GLOBAL__N_126adaptive_average_pool_nhwcIiN3c104HalfEEEvPKT0_PS5_iiiiiiiiT_S9_S9_S9_
		.amdhsa_group_segment_fixed_size 0
		.amdhsa_private_segment_fixed_size 0
		.amdhsa_kernarg_size 320
		.amdhsa_user_sgpr_count 13
		.amdhsa_user_sgpr_dispatch_ptr 0
		.amdhsa_user_sgpr_queue_ptr 0
		.amdhsa_user_sgpr_kernarg_segment_ptr 1
		.amdhsa_user_sgpr_dispatch_id 0
		.amdhsa_user_sgpr_private_segment_size 0
		.amdhsa_wavefront_size32 1
		.amdhsa_uses_dynamic_stack 0
		.amdhsa_enable_private_segment 0
		.amdhsa_system_sgpr_workgroup_id_x 1
		.amdhsa_system_sgpr_workgroup_id_y 1
		.amdhsa_system_sgpr_workgroup_id_z 1
		.amdhsa_system_sgpr_workgroup_info 0
		.amdhsa_system_vgpr_workitem_id 2
		.amdhsa_next_free_vgpr 29
		.amdhsa_next_free_sgpr 35
		.amdhsa_reserve_vcc 1
		.amdhsa_float_round_mode_32 0
		.amdhsa_float_round_mode_16_64 0
		.amdhsa_float_denorm_mode_32 3
		.amdhsa_float_denorm_mode_16_64 3
		.amdhsa_dx10_clamp 1
		.amdhsa_ieee_mode 1
		.amdhsa_fp16_overflow 0
		.amdhsa_workgroup_processor_mode 1
		.amdhsa_memory_ordered 1
		.amdhsa_forward_progress 0
		.amdhsa_shared_vgpr_count 0
		.amdhsa_exception_fp_ieee_invalid_op 0
		.amdhsa_exception_fp_denorm_src 0
		.amdhsa_exception_fp_ieee_div_zero 0
		.amdhsa_exception_fp_ieee_overflow 0
		.amdhsa_exception_fp_ieee_underflow 0
		.amdhsa_exception_fp_ieee_inexact 0
		.amdhsa_exception_int_div_zero 0
	.end_amdhsa_kernel
	.section	.text._ZN2at6native12_GLOBAL__N_126adaptive_average_pool_nhwcIiN3c104HalfEEEvPKT0_PS5_iiiiiiiiT_S9_S9_S9_,"axG",@progbits,_ZN2at6native12_GLOBAL__N_126adaptive_average_pool_nhwcIiN3c104HalfEEEvPKT0_PS5_iiiiiiiiT_S9_S9_S9_,comdat
.Lfunc_end2:
	.size	_ZN2at6native12_GLOBAL__N_126adaptive_average_pool_nhwcIiN3c104HalfEEEvPKT0_PS5_iiiiiiiiT_S9_S9_S9_, .Lfunc_end2-_ZN2at6native12_GLOBAL__N_126adaptive_average_pool_nhwcIiN3c104HalfEEEvPKT0_PS5_iiiiiiiiT_S9_S9_S9_
                                        ; -- End function
	.section	.AMDGPU.csdata,"",@progbits
; Kernel info:
; codeLenInByte = 2052
; NumSgprs: 37
; NumVgprs: 29
; ScratchSize: 0
; MemoryBound: 0
; FloatMode: 240
; IeeeMode: 1
; LDSByteSize: 0 bytes/workgroup (compile time only)
; SGPRBlocks: 4
; VGPRBlocks: 3
; NumSGPRsForWavesPerEU: 37
; NumVGPRsForWavesPerEU: 29
; Occupancy: 16
; WaveLimiterHint : 0
; COMPUTE_PGM_RSRC2:SCRATCH_EN: 0
; COMPUTE_PGM_RSRC2:USER_SGPR: 13
; COMPUTE_PGM_RSRC2:TRAP_HANDLER: 0
; COMPUTE_PGM_RSRC2:TGID_X_EN: 1
; COMPUTE_PGM_RSRC2:TGID_Y_EN: 1
; COMPUTE_PGM_RSRC2:TGID_Z_EN: 1
; COMPUTE_PGM_RSRC2:TIDIG_COMP_CNT: 2
	.section	.text._ZN2at6native12_GLOBAL__N_126adaptive_average_pool_nhwcIiN3c108BFloat16EEEvPKT0_PS5_iiiiiiiiT_S9_S9_S9_,"axG",@progbits,_ZN2at6native12_GLOBAL__N_126adaptive_average_pool_nhwcIiN3c108BFloat16EEEvPKT0_PS5_iiiiiiiiT_S9_S9_S9_,comdat
	.globl	_ZN2at6native12_GLOBAL__N_126adaptive_average_pool_nhwcIiN3c108BFloat16EEEvPKT0_PS5_iiiiiiiiT_S9_S9_S9_ ; -- Begin function _ZN2at6native12_GLOBAL__N_126adaptive_average_pool_nhwcIiN3c108BFloat16EEEvPKT0_PS5_iiiiiiiiT_S9_S9_S9_
	.p2align	8
	.type	_ZN2at6native12_GLOBAL__N_126adaptive_average_pool_nhwcIiN3c108BFloat16EEEvPKT0_PS5_iiiiiiiiT_S9_S9_S9_,@function
_ZN2at6native12_GLOBAL__N_126adaptive_average_pool_nhwcIiN3c108BFloat16EEEvPKT0_PS5_iiiiiiiiT_S9_S9_S9_: ; @_ZN2at6native12_GLOBAL__N_126adaptive_average_pool_nhwcIiN3c108BFloat16EEEvPKT0_PS5_iiiiiiiiT_S9_S9_S9_
; %bb.0:
	s_clause 0x3
	s_load_b128 s[20:23], s[0:1], 0x44
	s_load_b256 s[4:11], s[0:1], 0x10
	s_load_b128 s[16:19], s[0:1], 0x30
	s_load_b128 s[0:3], s[0:1], 0x0
	v_bfe_u32 v3, v0, 10, 10
	v_bfe_u32 v2, v0, 20, 10
	v_and_b32_e32 v4, 0x3ff, v0
	s_waitcnt lgkmcnt(0)
	s_lshr_b32 s12, s22, 16
	s_and_b32 s26, s22, 0xffff
	v_mad_u32_u24 v6, v2, s12, v3
	s_mul_i32 s24, s26, s11
	s_and_b32 s22, s23, 0xffff
	s_mul_i32 s23, s24, s12
	s_mov_b32 s24, exec_lo
	v_mad_u64_u32 v[0:1], null, v6, s26, v[4:5]
	s_mul_i32 s23, s23, s22
	s_delay_alu instid0(VALU_DEP_1) | instid1(SALU_CYCLE_1)
	v_cmpx_gt_u32_e64 s23, v0
	s_cbranch_execz .LBB3_3
; %bb.1:
	s_mul_i32 s25, s12, s26
	v_lshl_add_u32 v1, v0, 2, 0
	v_mov_b32_e32 v5, 0
	s_mul_i32 s25, s25, s22
	s_mov_b32 s27, 0
	s_lshl_b32 s28, s25, 2
.LBB3_2:                                ; =>This Inner Loop Header: Depth=1
	v_add_nc_u32_e32 v0, s25, v0
	ds_store_b32 v1, v5
	v_add_nc_u32_e32 v1, s28, v1
	v_cmp_le_u32_e32 vcc_lo, s23, v0
	s_or_b32 s27, vcc_lo, s27
	s_delay_alu instid0(SALU_CYCLE_1)
	s_and_not1_b32 exec_lo, exec_lo, s27
	s_cbranch_execnz .LBB3_2
.LBB3_3:
	s_or_b32 exec_lo, exec_lo, s24
	v_cvt_f32_u32_e32 v0, s21
	s_sub_i32 s23, 0, s21
	s_waitcnt lgkmcnt(0)
	s_barrier
	buffer_gl0_inv
	v_rcp_iflag_f32_e32 v0, v0
	s_waitcnt_depctr 0xfff
	v_mul_f32_e32 v0, 0x4f7ffffe, v0
	s_delay_alu instid0(VALU_DEP_1) | instskip(NEXT) | instid1(VALU_DEP_1)
	v_cvt_u32_f32_e32 v0, v0
	v_readfirstlane_b32 s24, v0
	v_cvt_f32_u32_e32 v0, s4
	s_delay_alu instid0(VALU_DEP_2)
	s_mul_i32 s25, s23, s24
	s_add_i32 s23, s8, -1
	s_mul_hi_u32 s25, s24, s25
	s_add_i32 s27, s23, s21
	s_add_i32 s24, s24, s25
	v_rcp_iflag_f32_e32 v5, v0
	s_mul_hi_u32 s24, s27, s24
	v_cvt_f32_u32_e32 v0, s20
	s_mul_i32 s25, s24, s21
	s_delay_alu instid0(SALU_CYCLE_1)
	s_sub_i32 s25, s27, s25
	s_add_i32 s27, s24, 1
	s_sub_i32 s28, s25, s21
	s_cmp_ge_u32 s25, s21
	v_rcp_iflag_f32_e32 v7, v0
	s_cselect_b32 s24, s27, s24
	s_cselect_b32 s25, s28, s25
	s_add_i32 s27, s24, 1
	s_cmp_ge_u32 s25, s21
	s_cselect_b32 s21, s27, s24
	s_delay_alu instid0(SALU_CYCLE_1) | instskip(SKIP_3) | instid1(VALU_DEP_1)
	v_mad_u64_u32 v[0:1], null, s21, s15, v[2:3]
	s_waitcnt_depctr 0xfff
	v_dual_mul_f32 v1, 0x4f7ffffe, v5 :: v_dual_mul_f32 v2, 0x4f7ffffe, v7
	s_mov_b32 s15, 0
	v_cvt_u32_f32_e32 v1, v1
	v_add_nc_u32_e32 v5, s21, v0
	s_delay_alu instid0(VALU_DEP_3) | instskip(SKIP_1) | instid1(VALU_DEP_3)
	v_cvt_u32_f32_e32 v2, v2
	s_mov_b32 s21, exec_lo
	v_readfirstlane_b32 s25, v1
	s_delay_alu instid0(VALU_DEP_3) | instskip(NEXT) | instid1(VALU_DEP_3)
	v_min_i32_e32 v5, s8, v5
	v_readfirstlane_b32 s24, v2
	s_delay_alu instid0(VALU_DEP_2)
	v_cmpx_lt_i32_e64 v0, v5
	s_cbranch_execz .LBB3_21
; %bb.4:
	s_sub_i32 s27, 0, s4
	s_sub_i32 s28, 0, s20
	s_mul_i32 s27, s27, s25
	s_mul_i32 s28, s28, s24
	s_mul_hi_u32 s27, s25, s27
	s_add_i32 s21, s9, -1
	s_add_i32 s25, s25, s27
	s_mul_hi_u32 s27, s24, s28
	s_mul_hi_u32 s25, s13, s25
	s_add_i32 s27, s24, s27
	s_mul_i32 s28, s25, s4
	s_add_i32 s30, s21, s20
	s_sub_i32 s24, s13, s28
	s_add_i32 s28, s25, 1
	s_sub_i32 s29, s24, s4
	s_cmp_ge_u32 s24, s4
	v_mul_lo_u32 v6, s11, v6
	s_cselect_b32 s25, s28, s25
	s_cselect_b32 s24, s29, s24
	s_add_i32 s28, s25, 1
	s_cmp_ge_u32 s24, s4
	s_mul_i32 s24, s8, s5
	s_cselect_b32 s31, s28, s25
	s_mul_i32 s24, s24, s9
	s_mul_i32 s4, s31, s4
	v_mul_lo_u32 v6, v6, s26
	s_sub_i32 s4, s13, s4
	v_lshlrev_b32_e32 v11, 2, v4
	s_mul_i32 s24, s24, s4
	s_mul_i32 s28, s4, s16
	s_ashr_i32 s25, s24, 31
	s_mul_i32 s11, s26, s10
	s_lshl_b64 s[24:25], s[24:25], 1
	s_delay_alu instid0(SALU_CYCLE_1)
	s_add_u32 s4, s2, s24
	s_addc_u32 s13, s3, s25
	s_ashr_i32 s29, s28, 31
	s_mul_hi_u32 s25, s30, s27
	s_lshl_b64 s[2:3], s[28:29], 1
	s_mul_i32 s27, s25, s20
	s_add_u32 s16, s0, s2
	s_addc_u32 s24, s1, s3
	s_sub_i32 s0, s30, s27
	s_add_i32 s1, s25, 1
	s_sub_i32 s2, s0, s20
	s_cmp_ge_u32 s0, s20
	s_cselect_b32 s1, s1, s25
	s_cselect_b32 s0, s2, s0
	s_add_i32 s2, s1, 1
	s_cmp_ge_u32 s0, s20
	s_cselect_b32 s0, s2, s1
	s_abs_i32 s20, s8
	s_abs_i32 s25, s9
	v_cvt_f32_u32_e32 v1, s20
	v_cvt_f32_u32_e32 v2, s25
	s_sub_i32 s1, 0, s20
	s_sub_i32 s2, 0, s25
	s_ashr_i32 s8, s8, 31
	v_rcp_iflag_f32_e32 v1, v1
	v_rcp_iflag_f32_e32 v2, v2
	s_waitcnt_depctr 0xfff
	v_dual_mul_f32 v1, 0x4f7ffffe, v1 :: v_dual_mul_f32 v2, 0x4f7ffffe, v2
	s_delay_alu instid0(VALU_DEP_1) | instskip(NEXT) | instid1(VALU_DEP_2)
	v_cvt_u32_f32_e32 v9, v1
	v_cvt_u32_f32_e32 v10, v2
	v_mad_u64_u32 v[1:2], null, s0, s14, v[3:4]
	v_mad_u64_u32 v[2:3], null, s31, s26, v[4:5]
	s_delay_alu instid0(VALU_DEP_4) | instskip(NEXT) | instid1(VALU_DEP_4)
	v_mul_lo_u32 v7, s1, v9
	v_mul_lo_u32 v8, s2, v10
	v_lshlrev_b32_e32 v4, 2, v6
	s_mul_i32 s14, s17, s10
	v_add_nc_u32_e32 v3, s0, v1
	s_ashr_i32 s10, s9, 31
	v_cmp_gt_i32_e64 s0, s5, v2
	s_mul_i32 s14, s14, s26
	v_mul_hi_u32 v12, v9, v7
	v_mul_hi_u32 v13, v10, v8
	v_min_i32_e32 v6, s9, v3
	v_mul_lo_u32 v8, s17, v2
	v_add3_u32 v7, v4, v11, 0
	v_mov_b32_e32 v11, 0
	s_lshl_b32 s17, s26, 2
	v_cmp_lt_i32_e64 s1, v1, v6
	v_add_nc_u32_e32 v9, v9, v12
	v_add_nc_u32_e32 v10, v10, v13
	s_branch .LBB3_6
.LBB3_5:                                ;   in Loop: Header=BB3_6 Depth=1
	s_or_b32 exec_lo, exec_lo, s26
	v_add_nc_u32_e32 v0, s22, v0
	s_delay_alu instid0(VALU_DEP_1) | instskip(SKIP_1) | instid1(SALU_CYCLE_1)
	v_cmp_ge_i32_e32 vcc_lo, v0, v5
	s_or_b32 s15, vcc_lo, s15
	s_and_not1_b32 exec_lo, exec_lo, s15
	s_cbranch_execz .LBB3_21
.LBB3_6:                                ; =>This Loop Header: Depth=1
                                        ;     Child Loop BB3_9 Depth 2
                                        ;       Child Loop BB3_12 Depth 3
                                        ;         Child Loop BB3_15 Depth 4
                                        ;           Child Loop BB3_17 Depth 5
                                        ;       Child Loop BB3_20 Depth 3
	s_delay_alu instid0(VALU_DEP_3)
	s_and_saveexec_b32 s26, s1
	s_cbranch_execz .LBB3_5
; %bb.7:                                ;   in Loop: Header=BB3_6 Depth=1
	v_mul_lo_u32 v3, v0, s6
	s_mov_b32 s27, 0
	s_delay_alu instid0(VALU_DEP_1) | instskip(SKIP_1) | instid1(VALU_DEP_2)
	v_add3_u32 v4, s23, s6, v3
	v_sub_nc_u32_e32 v12, 0, v3
	v_sub_nc_u32_e32 v13, 0, v4
	s_delay_alu instid0(VALU_DEP_2) | instskip(SKIP_1) | instid1(VALU_DEP_3)
	v_max_i32_e32 v12, v3, v12
	v_ashrrev_i32_e32 v3, 31, v3
	v_max_i32_e32 v13, v4, v13
	s_delay_alu instid0(VALU_DEP_3) | instskip(SKIP_1) | instid1(VALU_DEP_4)
	v_mul_hi_u32 v14, v12, v9
	v_ashrrev_i32_e32 v4, 31, v4
	v_xor_b32_e32 v3, s8, v3
	s_delay_alu instid0(VALU_DEP_4) | instskip(NEXT) | instid1(VALU_DEP_3)
	v_mul_hi_u32 v15, v13, v9
	v_xor_b32_e32 v4, s8, v4
	v_mul_lo_u32 v16, v14, s20
	s_delay_alu instid0(VALU_DEP_3) | instskip(NEXT) | instid1(VALU_DEP_2)
	v_mul_lo_u32 v17, v15, s20
	v_sub_nc_u32_e32 v12, v12, v16
	s_delay_alu instid0(VALU_DEP_2) | instskip(NEXT) | instid1(VALU_DEP_2)
	v_sub_nc_u32_e32 v13, v13, v17
	v_cmp_le_u32_e32 vcc_lo, s20, v12
	v_add_nc_u32_e32 v17, 1, v15
	s_delay_alu instid0(VALU_DEP_3) | instskip(SKIP_1) | instid1(VALU_DEP_2)
	v_cmp_le_u32_e64 s2, s20, v13
	v_subrev_nc_u32_e32 v18, s20, v13
	v_cndmask_b32_e64 v15, v15, v17, s2
	s_delay_alu instid0(VALU_DEP_2) | instskip(NEXT) | instid1(VALU_DEP_2)
	v_cndmask_b32_e64 v13, v13, v18, s2
	v_add_nc_u32_e32 v17, 1, v15
	v_add_nc_u32_e32 v16, 1, v14
	s_delay_alu instid0(VALU_DEP_1) | instskip(SKIP_1) | instid1(VALU_DEP_1)
	v_cndmask_b32_e32 v14, v14, v16, vcc_lo
	v_subrev_nc_u32_e32 v16, s20, v12
	v_cndmask_b32_e32 v12, v12, v16, vcc_lo
	s_delay_alu instid0(VALU_DEP_3) | instskip(NEXT) | instid1(VALU_DEP_2)
	v_add_nc_u32_e32 v16, 1, v14
	v_cmp_le_u32_e32 vcc_lo, s20, v12
	s_delay_alu instid0(VALU_DEP_2) | instskip(SKIP_3) | instid1(VALU_DEP_4)
	v_cndmask_b32_e32 v12, v14, v16, vcc_lo
	v_cmp_le_u32_e32 vcc_lo, s20, v13
	v_mul_lo_u32 v14, v0, s9
	v_mov_b32_e32 v16, v1
	v_xor_b32_e32 v12, v12, v3
	v_cndmask_b32_e32 v13, v15, v17, vcc_lo
	s_delay_alu instid0(VALU_DEP_2) | instskip(NEXT) | instid1(VALU_DEP_2)
	v_sub_nc_u32_e32 v12, v12, v3
	v_xor_b32_e32 v13, v13, v4
	s_delay_alu instid0(VALU_DEP_1) | instskip(NEXT) | instid1(VALU_DEP_1)
	v_sub_nc_u32_e32 v13, v13, v4
	v_sub_nc_u32_e32 v15, v13, v12
	v_cmp_gt_i32_e64 s2, v13, v12
	s_branch .LBB3_9
.LBB3_8:                                ;   in Loop: Header=BB3_9 Depth=2
	s_or_b32 exec_lo, exec_lo, s28
	v_add_nc_u32_e32 v16, s12, v16
	s_delay_alu instid0(VALU_DEP_1) | instskip(SKIP_1) | instid1(SALU_CYCLE_1)
	v_cmp_ge_i32_e32 vcc_lo, v16, v6
	s_or_b32 s27, vcc_lo, s27
	s_and_not1_b32 exec_lo, exec_lo, s27
	s_cbranch_execz .LBB3_5
.LBB3_9:                                ;   Parent Loop BB3_6 Depth=1
                                        ; =>  This Loop Header: Depth=2
                                        ;       Child Loop BB3_12 Depth 3
                                        ;         Child Loop BB3_15 Depth 4
                                        ;           Child Loop BB3_17 Depth 5
                                        ;       Child Loop BB3_20 Depth 3
	v_mul_lo_u32 v3, v16, s7
	s_delay_alu instid0(VALU_DEP_1) | instskip(SKIP_1) | instid1(VALU_DEP_2)
	v_add3_u32 v4, s21, s7, v3
	v_sub_nc_u32_e32 v17, 0, v3
	v_sub_nc_u32_e32 v18, 0, v4
	s_delay_alu instid0(VALU_DEP_2) | instskip(SKIP_1) | instid1(VALU_DEP_3)
	v_max_i32_e32 v17, v3, v17
	v_ashrrev_i32_e32 v3, 31, v3
	v_max_i32_e32 v18, v4, v18
	s_delay_alu instid0(VALU_DEP_3) | instskip(SKIP_1) | instid1(VALU_DEP_4)
	v_mul_hi_u32 v19, v17, v10
	v_ashrrev_i32_e32 v4, 31, v4
	v_xor_b32_e32 v3, s10, v3
	s_delay_alu instid0(VALU_DEP_4) | instskip(NEXT) | instid1(VALU_DEP_3)
	v_mul_hi_u32 v20, v18, v10
	v_xor_b32_e32 v4, s10, v4
	v_mul_lo_u32 v21, v19, s25
	s_delay_alu instid0(VALU_DEP_3) | instskip(NEXT) | instid1(VALU_DEP_2)
	v_mul_lo_u32 v22, v20, s25
	v_sub_nc_u32_e32 v17, v17, v21
	s_delay_alu instid0(VALU_DEP_2) | instskip(NEXT) | instid1(VALU_DEP_2)
	v_sub_nc_u32_e32 v18, v18, v22
	v_cmp_le_u32_e32 vcc_lo, s25, v17
	v_add_nc_u32_e32 v22, 1, v20
	s_delay_alu instid0(VALU_DEP_3) | instskip(SKIP_1) | instid1(VALU_DEP_2)
	v_cmp_le_u32_e64 s3, s25, v18
	v_subrev_nc_u32_e32 v23, s25, v18
	v_cndmask_b32_e64 v20, v20, v22, s3
	s_delay_alu instid0(VALU_DEP_2) | instskip(NEXT) | instid1(VALU_DEP_2)
	v_cndmask_b32_e64 v18, v18, v23, s3
	v_add_nc_u32_e32 v22, 1, v20
	v_add_nc_u32_e32 v21, 1, v19
	s_delay_alu instid0(VALU_DEP_1) | instskip(SKIP_1) | instid1(VALU_DEP_1)
	v_cndmask_b32_e32 v19, v19, v21, vcc_lo
	v_subrev_nc_u32_e32 v21, s25, v17
	v_cndmask_b32_e32 v17, v17, v21, vcc_lo
	s_delay_alu instid0(VALU_DEP_3) | instskip(NEXT) | instid1(VALU_DEP_2)
	v_add_nc_u32_e32 v21, 1, v19
	v_cmp_le_u32_e32 vcc_lo, s25, v17
	s_delay_alu instid0(VALU_DEP_2) | instskip(SKIP_1) | instid1(VALU_DEP_2)
	v_cndmask_b32_e32 v17, v19, v21, vcc_lo
	v_cmp_le_u32_e32 vcc_lo, s25, v18
	v_xor_b32_e32 v17, v17, v3
	v_cndmask_b32_e32 v18, v20, v22, vcc_lo
	s_delay_alu instid0(VALU_DEP_2) | instskip(NEXT) | instid1(VALU_DEP_2)
	v_sub_nc_u32_e32 v17, v17, v3
	v_xor_b32_e32 v18, v18, v4
	s_delay_alu instid0(VALU_DEP_1)
	v_sub_nc_u32_e32 v18, v18, v4
	s_and_saveexec_b32 s28, s2
	s_cbranch_execz .LBB3_18
; %bb.10:                               ;   in Loop: Header=BB3_9 Depth=2
	s_delay_alu instid0(VALU_DEP_1)
	v_cmp_gt_i32_e32 vcc_lo, v18, v17
	v_mov_b32_e32 v19, v12
	s_mov_b32 s29, 0
	s_branch .LBB3_12
.LBB3_11:                               ;   in Loop: Header=BB3_12 Depth=3
	s_set_inst_prefetch_distance 0x2
	s_or_b32 exec_lo, exec_lo, s30
	v_add_nc_u32_e32 v19, 1, v19
	s_delay_alu instid0(VALU_DEP_1) | instskip(NEXT) | instid1(VALU_DEP_1)
	v_cmp_ge_i32_e64 s3, v19, v13
	s_or_b32 s29, s3, s29
	s_delay_alu instid0(SALU_CYCLE_1)
	s_and_not1_b32 exec_lo, exec_lo, s29
	s_cbranch_execz .LBB3_18
.LBB3_12:                               ;   Parent Loop BB3_6 Depth=1
                                        ;     Parent Loop BB3_9 Depth=2
                                        ; =>    This Loop Header: Depth=3
                                        ;         Child Loop BB3_15 Depth 4
                                        ;           Child Loop BB3_17 Depth 5
	s_and_saveexec_b32 s30, vcc_lo
	s_cbranch_execz .LBB3_11
; %bb.13:                               ;   in Loop: Header=BB3_12 Depth=3
	v_mul_lo_u32 v3, v19, s18
	v_mov_b32_e32 v22, v17
	s_mov_b32 s31, 0
	s_delay_alu instid0(VALU_DEP_2) | instskip(NEXT) | instid1(VALU_DEP_1)
	v_ashrrev_i32_e32 v4, 31, v3
	v_lshlrev_b64 v[3:4], 1, v[3:4]
	s_delay_alu instid0(VALU_DEP_1) | instskip(NEXT) | instid1(VALU_DEP_1)
	v_add_co_u32 v20, s3, s16, v3
	v_add_co_ci_u32_e64 v21, s3, s24, v4, s3
	s_set_inst_prefetch_distance 0x1
	s_branch .LBB3_15
	.p2align	6
.LBB3_14:                               ;   in Loop: Header=BB3_15 Depth=4
	s_or_b32 exec_lo, exec_lo, s33
	v_add_nc_u32_e32 v22, 1, v22
	s_delay_alu instid0(VALU_DEP_1) | instskip(NEXT) | instid1(VALU_DEP_1)
	v_cmp_ge_i32_e64 s3, v22, v18
	s_or_b32 s31, s3, s31
	s_delay_alu instid0(SALU_CYCLE_1)
	s_and_not1_b32 exec_lo, exec_lo, s31
	s_cbranch_execz .LBB3_11
.LBB3_15:                               ;   Parent Loop BB3_6 Depth=1
                                        ;     Parent Loop BB3_9 Depth=2
                                        ;       Parent Loop BB3_12 Depth=3
                                        ; =>      This Loop Header: Depth=4
                                        ;           Child Loop BB3_17 Depth 5
	s_and_saveexec_b32 s33, s0
	s_cbranch_execz .LBB3_14
; %bb.16:                               ;   in Loop: Header=BB3_15 Depth=4
	v_mul_lo_u32 v3, v22, s19
	v_dual_mov_b32 v23, v7 :: v_dual_mov_b32 v26, v2
	s_mov_b32 s34, 0
	s_delay_alu instid0(VALU_DEP_2) | instskip(NEXT) | instid1(VALU_DEP_1)
	v_ashrrev_i32_e32 v4, 31, v3
	v_lshlrev_b64 v[24:25], 1, v[3:4]
	v_mov_b32_e32 v3, v8
	s_delay_alu instid0(VALU_DEP_2) | instskip(NEXT) | instid1(VALU_DEP_1)
	v_add_co_u32 v24, s3, v20, v24
	v_add_co_ci_u32_e64 v25, s3, v21, v25, s3
	.p2align	6
.LBB3_17:                               ;   Parent Loop BB3_6 Depth=1
                                        ;     Parent Loop BB3_9 Depth=2
                                        ;       Parent Loop BB3_12 Depth=3
                                        ;         Parent Loop BB3_15 Depth=4
                                        ; =>        This Inner Loop Header: Depth=5
	s_delay_alu instid0(VALU_DEP_3) | instskip(SKIP_1) | instid1(VALU_DEP_2)
	v_ashrrev_i32_e32 v4, 31, v3
	v_add_nc_u32_e32 v26, s11, v26
	v_lshlrev_b64 v[27:28], 1, v[3:4]
	v_add_nc_u32_e32 v3, s14, v3
	s_delay_alu instid0(VALU_DEP_2) | instskip(NEXT) | instid1(VALU_DEP_1)
	v_add_co_u32 v27, s3, v24, v27
	v_add_co_ci_u32_e64 v28, s3, v25, v28, s3
	v_cmp_le_i32_e64 s3, s5, v26
	global_load_u16 v4, v[27:28], off
	ds_load_b32 v27, v23
	s_or_b32 s34, s3, s34
	s_waitcnt vmcnt(0)
	v_lshlrev_b32_e32 v4, 16, v4
	s_waitcnt lgkmcnt(0)
	s_delay_alu instid0(VALU_DEP_1)
	v_add_f32_e32 v4, v27, v4
	ds_store_b32 v23, v4
	v_add_nc_u32_e32 v23, s17, v23
	s_and_not1_b32 exec_lo, exec_lo, s34
	s_cbranch_execnz .LBB3_17
	s_branch .LBB3_14
.LBB3_18:                               ;   in Loop: Header=BB3_9 Depth=2
	s_or_b32 exec_lo, exec_lo, s28
	s_and_saveexec_b32 s28, s0
	s_cbranch_execz .LBB3_8
; %bb.19:                               ;   in Loop: Header=BB3_9 Depth=2
	v_sub_nc_u32_e32 v3, v18, v17
	s_mov_b32 s29, 0
	s_delay_alu instid0(VALU_DEP_1) | instskip(NEXT) | instid1(VALU_DEP_1)
	v_mul_lo_u32 v3, v3, v15
	v_cvt_f32_i32_e32 v3, v3
	s_delay_alu instid0(VALU_DEP_1) | instskip(NEXT) | instid1(VALU_DEP_1)
	v_bfe_u32 v4, v3, 16, 1
	v_add3_u32 v3, v3, v4, 0x7fff
	s_delay_alu instid0(VALU_DEP_1) | instskip(NEXT) | instid1(VALU_DEP_1)
	v_and_b32_e32 v4, 0xffff0000, v3
	v_div_scale_f32 v3, null, v4, v4, 1.0
	s_delay_alu instid0(VALU_DEP_1) | instskip(SKIP_2) | instid1(VALU_DEP_1)
	v_rcp_f32_e32 v17, v3
	s_waitcnt_depctr 0xfff
	v_fma_f32 v18, -v3, v17, 1.0
	v_fmac_f32_e32 v17, v18, v17
	v_div_scale_f32 v19, vcc_lo, 1.0, v4, 1.0
	s_delay_alu instid0(VALU_DEP_1) | instskip(NEXT) | instid1(VALU_DEP_1)
	v_mul_f32_e32 v18, v19, v17
	v_fma_f32 v20, -v3, v18, v19
	s_delay_alu instid0(VALU_DEP_1) | instskip(NEXT) | instid1(VALU_DEP_1)
	v_fmac_f32_e32 v18, v20, v17
	v_fma_f32 v3, -v3, v18, v19
	v_add_nc_u32_e32 v19, v16, v14
	s_delay_alu instid0(VALU_DEP_2) | instskip(NEXT) | instid1(VALU_DEP_2)
	v_div_fmas_f32 v17, v3, v17, v18
	v_mul_lo_u32 v3, v19, s5
	s_delay_alu instid0(VALU_DEP_2) | instskip(NEXT) | instid1(VALU_DEP_2)
	v_div_fixup_f32 v20, v17, v4, 1.0
	v_ashrrev_i32_e32 v4, 31, v3
	s_delay_alu instid0(VALU_DEP_2) | instskip(NEXT) | instid1(VALU_DEP_2)
	v_bfe_u32 v17, v20, 16, 1
	v_lshlrev_b64 v[3:4], 1, v[3:4]
	s_delay_alu instid0(VALU_DEP_2) | instskip(SKIP_1) | instid1(VALU_DEP_2)
	v_add3_u32 v18, v20, v17, 0x7fff
	v_mov_b32_e32 v17, v7
	v_and_b32_e32 v21, 0xffff0000, v18
	s_delay_alu instid0(VALU_DEP_4) | instskip(SKIP_2) | instid1(VALU_DEP_4)
	v_add_co_u32 v18, vcc_lo, s4, v3
	v_add_co_ci_u32_e32 v19, vcc_lo, s13, v4, vcc_lo
	v_cmp_o_f32_e32 vcc_lo, v20, v20
	v_dual_mov_b32 v3, v2 :: v_dual_cndmask_b32 v20, 0x7fc00000, v21
	.p2align	6
.LBB3_20:                               ;   Parent Loop BB3_6 Depth=1
                                        ;     Parent Loop BB3_9 Depth=2
                                        ; =>    This Inner Loop Header: Depth=3
	ds_load_b32 v21, v17
	v_ashrrev_i32_e32 v4, 31, v3
	ds_store_b32 v17, v11
	v_add_nc_u32_e32 v17, s17, v17
	s_waitcnt lgkmcnt(1)
	v_mul_f32_e32 v23, v20, v21
	v_lshlrev_b64 v[21:22], 1, v[3:4]
	v_add_nc_u32_e32 v3, s11, v3
	s_delay_alu instid0(VALU_DEP_3) | instskip(NEXT) | instid1(VALU_DEP_3)
	v_bfe_u32 v24, v23, 16, 1
	v_add_co_u32 v21, s3, v18, v21
	s_delay_alu instid0(VALU_DEP_1) | instskip(NEXT) | instid1(VALU_DEP_3)
	v_add_co_ci_u32_e64 v22, s3, v19, v22, s3
	v_add3_u32 v4, v23, v24, 0x7fff
	v_cmp_o_f32_e64 s3, v23, v23
	v_cmp_le_i32_e32 vcc_lo, s5, v3
	s_delay_alu instid0(VALU_DEP_3) | instskip(SKIP_1) | instid1(VALU_DEP_1)
	v_lshrrev_b32_e32 v4, 16, v4
	s_or_b32 s29, vcc_lo, s29
	v_cndmask_b32_e64 v4, 0x7fc0, v4, s3
	global_store_b16 v[21:22], v4, off
	s_and_not1_b32 exec_lo, exec_lo, s29
	s_cbranch_execnz .LBB3_20
	s_branch .LBB3_8
.LBB3_21:
	s_nop 0
	s_sendmsg sendmsg(MSG_DEALLOC_VGPRS)
	s_endpgm
	.section	.rodata,"a",@progbits
	.p2align	6, 0x0
	.amdhsa_kernel _ZN2at6native12_GLOBAL__N_126adaptive_average_pool_nhwcIiN3c108BFloat16EEEvPKT0_PS5_iiiiiiiiT_S9_S9_S9_
		.amdhsa_group_segment_fixed_size 0
		.amdhsa_private_segment_fixed_size 0
		.amdhsa_kernarg_size 320
		.amdhsa_user_sgpr_count 13
		.amdhsa_user_sgpr_dispatch_ptr 0
		.amdhsa_user_sgpr_queue_ptr 0
		.amdhsa_user_sgpr_kernarg_segment_ptr 1
		.amdhsa_user_sgpr_dispatch_id 0
		.amdhsa_user_sgpr_private_segment_size 0
		.amdhsa_wavefront_size32 1
		.amdhsa_uses_dynamic_stack 0
		.amdhsa_enable_private_segment 0
		.amdhsa_system_sgpr_workgroup_id_x 1
		.amdhsa_system_sgpr_workgroup_id_y 1
		.amdhsa_system_sgpr_workgroup_id_z 1
		.amdhsa_system_sgpr_workgroup_info 0
		.amdhsa_system_vgpr_workitem_id 2
		.amdhsa_next_free_vgpr 29
		.amdhsa_next_free_sgpr 35
		.amdhsa_reserve_vcc 1
		.amdhsa_float_round_mode_32 0
		.amdhsa_float_round_mode_16_64 0
		.amdhsa_float_denorm_mode_32 3
		.amdhsa_float_denorm_mode_16_64 3
		.amdhsa_dx10_clamp 1
		.amdhsa_ieee_mode 1
		.amdhsa_fp16_overflow 0
		.amdhsa_workgroup_processor_mode 1
		.amdhsa_memory_ordered 1
		.amdhsa_forward_progress 0
		.amdhsa_shared_vgpr_count 0
		.amdhsa_exception_fp_ieee_invalid_op 0
		.amdhsa_exception_fp_denorm_src 0
		.amdhsa_exception_fp_ieee_div_zero 0
		.amdhsa_exception_fp_ieee_overflow 0
		.amdhsa_exception_fp_ieee_underflow 0
		.amdhsa_exception_fp_ieee_inexact 0
		.amdhsa_exception_int_div_zero 0
	.end_amdhsa_kernel
	.section	.text._ZN2at6native12_GLOBAL__N_126adaptive_average_pool_nhwcIiN3c108BFloat16EEEvPKT0_PS5_iiiiiiiiT_S9_S9_S9_,"axG",@progbits,_ZN2at6native12_GLOBAL__N_126adaptive_average_pool_nhwcIiN3c108BFloat16EEEvPKT0_PS5_iiiiiiiiT_S9_S9_S9_,comdat
.Lfunc_end3:
	.size	_ZN2at6native12_GLOBAL__N_126adaptive_average_pool_nhwcIiN3c108BFloat16EEEvPKT0_PS5_iiiiiiiiT_S9_S9_S9_, .Lfunc_end3-_ZN2at6native12_GLOBAL__N_126adaptive_average_pool_nhwcIiN3c108BFloat16EEEvPKT0_PS5_iiiiiiiiT_S9_S9_S9_
                                        ; -- End function
	.section	.AMDGPU.csdata,"",@progbits
; Kernel info:
; codeLenInByte = 2168
; NumSgprs: 37
; NumVgprs: 29
; ScratchSize: 0
; MemoryBound: 0
; FloatMode: 240
; IeeeMode: 1
; LDSByteSize: 0 bytes/workgroup (compile time only)
; SGPRBlocks: 4
; VGPRBlocks: 3
; NumSGPRsForWavesPerEU: 37
; NumVGPRsForWavesPerEU: 29
; Occupancy: 16
; WaveLimiterHint : 0
; COMPUTE_PGM_RSRC2:SCRATCH_EN: 0
; COMPUTE_PGM_RSRC2:USER_SGPR: 13
; COMPUTE_PGM_RSRC2:TRAP_HANDLER: 0
; COMPUTE_PGM_RSRC2:TGID_X_EN: 1
; COMPUTE_PGM_RSRC2:TGID_Y_EN: 1
; COMPUTE_PGM_RSRC2:TGID_Z_EN: 1
; COMPUTE_PGM_RSRC2:TIDIG_COMP_CNT: 2
	.section	.text._ZN2at6native12_GLOBAL__N_121adaptive_average_poolIdEEvPKT_PS3_iiiilll,"axG",@progbits,_ZN2at6native12_GLOBAL__N_121adaptive_average_poolIdEEvPKT_PS3_iiiilll,comdat
	.globl	_ZN2at6native12_GLOBAL__N_121adaptive_average_poolIdEEvPKT_PS3_iiiilll ; -- Begin function _ZN2at6native12_GLOBAL__N_121adaptive_average_poolIdEEvPKT_PS3_iiiilll
	.p2align	8
	.type	_ZN2at6native12_GLOBAL__N_121adaptive_average_poolIdEEvPKT_PS3_iiiilll,@function
_ZN2at6native12_GLOBAL__N_121adaptive_average_poolIdEEvPKT_PS3_iiiilll: ; @_ZN2at6native12_GLOBAL__N_121adaptive_average_poolIdEEvPKT_PS3_iiiilll
; %bb.0:
	s_clause 0x1
	s_load_b32 s13, s[0:1], 0x44
	s_load_b128 s[4:7], s[0:1], 0x10
	v_bfe_u32 v3, v0, 10, 10
	s_add_u32 s2, s0, 56
	s_addc_u32 s3, s1, 0
	s_mov_b32 s8, exec_lo
	s_waitcnt lgkmcnt(0)
	s_lshr_b32 s12, s13, 16
	s_delay_alu instid0(SALU_CYCLE_1) | instskip(NEXT) | instid1(VALU_DEP_1)
	v_mad_u64_u32 v[1:2], null, s15, s12, v[3:4]
	v_cmpx_gt_i32_e64 s6, v1
	s_cbranch_execz .LBB4_22
; %bb.1:
	s_clause 0x1
	s_load_b128 s[16:19], s[0:1], 0x0
	s_load_b128 s[8:11], s[0:1], 0x20
	s_mul_i32 s15, s14, s6
	s_load_b64 s[34:35], s[0:1], 0x30
	s_mul_i32 s22, s15, s7
	s_mov_b32 s20, s6
	s_ashr_i32 s23, s22, 31
	v_cvt_f32_u32_e32 v2, s20
	s_lshl_b64 s[0:1], s[22:23], 3
	s_load_b32 s29, s[2:3], 0x4
	v_and_b32_e32 v0, 0x3ff, v0
	s_mov_b32 s27, s5
	v_rcp_iflag_f32_e32 v2, v2
	s_mov_b32 s28, s7
	s_mov_b32 s30, 0
	s_waitcnt lgkmcnt(0)
	s_add_u32 s18, s18, s0
	s_addc_u32 s19, s19, s1
	s_abs_i32 s21, s6
	s_abs_i32 s22, s7
	v_cvt_f32_u32_e32 v3, s21
	v_cvt_f32_u32_e32 v4, s22
	s_and_b32 s23, s13, 0xffff
	s_sub_i32 s13, 0, s21
	s_ashr_i32 s3, s14, 31
	v_rcp_iflag_f32_e32 v3, v3
	s_waitcnt_depctr 0xfff
	v_mul_f32_e32 v2, 0x4f7ffffe, v2
	v_rcp_iflag_f32_e32 v4, v4
	s_mul_hi_u32 s2, s8, s14
	s_mul_i32 s3, s8, s3
	s_mul_i32 s1, s9, s14
	s_add_i32 s2, s2, s3
	s_mul_i32 s0, s8, s14
	s_add_i32 s1, s2, s1
	s_ashr_i32 s24, s6, 31
	v_mul_f32_e32 v3, 0x4f7ffffe, v3
	v_cvt_u32_f32_e32 v2, v2
	s_waitcnt_depctr 0xfff
	v_mul_f32_e32 v4, 0x4f7ffffe, v4
	s_lshl_b64 s[0:1], s[0:1], 3
	s_ashr_i32 s25, s5, 31
	v_cvt_u32_f32_e32 v5, v3
	s_ashr_i32 s26, s7, 31
	s_sub_i32 s2, 0, s22
	s_add_u32 s8, s16, s0
	s_addc_u32 s9, s17, s1
	v_mul_lo_u32 v3, s13, v5
	s_sub_i32 s0, 0, s6
	s_mul_i32 s29, s29, s12
	v_mul_lo_u32 v7, s0, v2
	v_cmp_gt_i32_e64 s0, s7, v0
	s_lshl_b64 s[10:11], s[10:11], 3
	s_lshl_b64 s[12:13], s[34:35], 3
	s_delay_alu instid0(VALU_DEP_3) | instskip(SKIP_3) | instid1(VALU_DEP_2)
	v_mul_hi_u32 v8, v5, v3
	v_mov_b32_e32 v3, 0
	v_cvt_u32_f32_e32 v4, v4
	v_mul_hi_u32 v7, v2, v7
	v_mul_lo_u32 v6, s2, v4
	v_add_nc_u32_e32 v14, v5, v8
	s_delay_alu instid0(VALU_DEP_3) | instskip(NEXT) | instid1(VALU_DEP_3)
	v_add_nc_u32_e32 v16, v2, v7
	v_mul_hi_u32 v6, v4, v6
	s_delay_alu instid0(VALU_DEP_1)
	v_add_nc_u32_e32 v15, v4, v6
	s_branch .LBB4_3
.LBB4_2:                                ;   in Loop: Header=BB4_3 Depth=1
	s_or_b32 exec_lo, exec_lo, s31
	v_add_nc_u32_e32 v1, s29, v1
	s_delay_alu instid0(VALU_DEP_1) | instskip(SKIP_1) | instid1(SALU_CYCLE_1)
	v_cmp_le_i32_e32 vcc_lo, s6, v1
	s_or_b32 s30, vcc_lo, s30
	s_and_not1_b32 exec_lo, exec_lo, s30
	s_cbranch_execz .LBB4_22
.LBB4_3:                                ; =>This Loop Header: Depth=1
                                        ;     Child Loop BB4_11 Depth 2
                                        ;       Child Loop BB4_18 Depth 3
                                        ;         Child Loop BB4_20 Depth 4
	s_and_saveexec_b32 s31, s0
	s_cbranch_execz .LBB4_2
; %bb.4:                                ;   in Loop: Header=BB4_3 Depth=1
	v_add_nc_u32_e32 v2, 1, v1
	v_mov_b32_e32 v6, v3
	s_delay_alu instid0(VALU_DEP_2) | instskip(NEXT) | instid1(VALU_DEP_1)
	v_mad_i64_i32 v[4:5], null, v2, s4, -1
	v_or_b32_e32 v7, s24, v5
	s_delay_alu instid0(VALU_DEP_1) | instskip(SKIP_1) | instid1(SALU_CYCLE_1)
	v_cmp_ne_u64_e32 vcc_lo, 0, v[6:7]
                                        ; implicit-def: $vgpr6_vgpr7
	s_and_saveexec_b32 s1, vcc_lo
	s_xor_b32 s16, exec_lo, s1
	s_cbranch_execz .LBB4_6
; %bb.5:                                ;   in Loop: Header=BB4_3 Depth=1
	s_add_u32 s14, s20, s24
	s_mov_b32 s2, s24
	s_mov_b32 s3, s24
	s_addc_u32 s15, s24, s24
	s_delay_alu instid0(SALU_CYCLE_1) | instskip(NEXT) | instid1(SALU_CYCLE_1)
	s_xor_b64 s[14:15], s[14:15], s[2:3]
	v_cvt_f32_u32_e32 v2, s14
	v_cvt_f32_u32_e32 v6, s15
	s_sub_u32 s1, 0, s14
	s_subb_u32 s3, 0, s15
	s_delay_alu instid0(VALU_DEP_1) | instskip(NEXT) | instid1(VALU_DEP_1)
	v_fmac_f32_e32 v2, 0x4f800000, v6
	v_rcp_f32_e32 v2, v2
	s_waitcnt_depctr 0xfff
	v_mul_f32_e32 v2, 0x5f7ffffc, v2
	s_delay_alu instid0(VALU_DEP_1) | instskip(NEXT) | instid1(VALU_DEP_1)
	v_mul_f32_e32 v6, 0x2f800000, v2
	v_trunc_f32_e32 v6, v6
	s_delay_alu instid0(VALU_DEP_1) | instskip(SKIP_1) | instid1(VALU_DEP_2)
	v_fmac_f32_e32 v2, 0xcf800000, v6
	v_cvt_u32_f32_e32 v6, v6
	v_cvt_u32_f32_e32 v2, v2
	s_delay_alu instid0(VALU_DEP_2) | instskip(NEXT) | instid1(VALU_DEP_2)
	v_mul_lo_u32 v7, s1, v6
	v_mul_hi_u32 v8, s1, v2
	v_mul_lo_u32 v9, s3, v2
	s_delay_alu instid0(VALU_DEP_2) | instskip(SKIP_1) | instid1(VALU_DEP_2)
	v_add_nc_u32_e32 v7, v8, v7
	v_mul_lo_u32 v8, s1, v2
	v_add_nc_u32_e32 v7, v7, v9
	s_delay_alu instid0(VALU_DEP_2) | instskip(NEXT) | instid1(VALU_DEP_2)
	v_mul_hi_u32 v9, v2, v8
	v_mul_lo_u32 v10, v2, v7
	v_mul_hi_u32 v11, v2, v7
	v_mul_hi_u32 v12, v6, v8
	v_mul_lo_u32 v8, v6, v8
	v_mul_hi_u32 v13, v6, v7
	v_mul_lo_u32 v7, v6, v7
	v_add_co_u32 v9, vcc_lo, v9, v10
	v_add_co_ci_u32_e32 v10, vcc_lo, 0, v11, vcc_lo
	s_delay_alu instid0(VALU_DEP_2) | instskip(NEXT) | instid1(VALU_DEP_2)
	v_add_co_u32 v8, vcc_lo, v9, v8
	v_add_co_ci_u32_e32 v8, vcc_lo, v10, v12, vcc_lo
	v_add_co_ci_u32_e32 v9, vcc_lo, 0, v13, vcc_lo
	v_ashrrev_i32_e32 v12, 31, v5
	s_delay_alu instid0(VALU_DEP_3) | instskip(NEXT) | instid1(VALU_DEP_3)
	v_add_co_u32 v7, vcc_lo, v8, v7
	v_add_co_ci_u32_e32 v8, vcc_lo, 0, v9, vcc_lo
	s_delay_alu instid0(VALU_DEP_2) | instskip(NEXT) | instid1(VALU_DEP_2)
	v_add_co_u32 v2, vcc_lo, v2, v7
	v_add_co_ci_u32_e32 v6, vcc_lo, v6, v8, vcc_lo
	s_delay_alu instid0(VALU_DEP_2) | instskip(SKIP_1) | instid1(VALU_DEP_3)
	v_mul_hi_u32 v7, s1, v2
	v_mul_lo_u32 v9, s3, v2
	v_mul_lo_u32 v8, s1, v6
	s_delay_alu instid0(VALU_DEP_1) | instskip(SKIP_1) | instid1(VALU_DEP_2)
	v_add_nc_u32_e32 v7, v7, v8
	v_mul_lo_u32 v8, s1, v2
	v_add_nc_u32_e32 v7, v7, v9
	s_delay_alu instid0(VALU_DEP_2) | instskip(NEXT) | instid1(VALU_DEP_2)
	v_mul_hi_u32 v9, v2, v8
	v_mul_lo_u32 v10, v2, v7
	v_mul_hi_u32 v11, v2, v7
	v_mul_hi_u32 v13, v6, v8
	v_mul_lo_u32 v8, v6, v8
	v_mul_hi_u32 v17, v6, v7
	v_mul_lo_u32 v7, v6, v7
	v_add_co_u32 v9, vcc_lo, v9, v10
	v_add_co_ci_u32_e32 v10, vcc_lo, 0, v11, vcc_lo
	s_delay_alu instid0(VALU_DEP_2) | instskip(NEXT) | instid1(VALU_DEP_2)
	v_add_co_u32 v8, vcc_lo, v9, v8
	v_add_co_ci_u32_e32 v8, vcc_lo, v10, v13, vcc_lo
	v_add_co_ci_u32_e32 v9, vcc_lo, 0, v17, vcc_lo
	v_add_co_u32 v4, vcc_lo, v4, v12
	v_add_co_ci_u32_e32 v5, vcc_lo, v5, v12, vcc_lo
	s_delay_alu instid0(VALU_DEP_4) | instskip(NEXT) | instid1(VALU_DEP_4)
	v_add_co_u32 v7, vcc_lo, v8, v7
	v_add_co_ci_u32_e32 v8, vcc_lo, 0, v9, vcc_lo
	s_delay_alu instid0(VALU_DEP_4) | instskip(NEXT) | instid1(VALU_DEP_3)
	v_xor_b32_e32 v10, v4, v12
	v_add_co_u32 v2, vcc_lo, v2, v7
	s_delay_alu instid0(VALU_DEP_3) | instskip(SKIP_1) | instid1(VALU_DEP_3)
	v_add_co_ci_u32_e32 v11, vcc_lo, v6, v8, vcc_lo
	v_xor_b32_e32 v13, v5, v12
	v_mul_hi_u32 v17, v10, v2
	s_delay_alu instid0(VALU_DEP_3) | instskip(NEXT) | instid1(VALU_DEP_3)
	v_mad_u64_u32 v[4:5], null, v10, v11, 0
	v_mad_u64_u32 v[6:7], null, v13, v2, 0
	v_mad_u64_u32 v[8:9], null, v13, v11, 0
	s_delay_alu instid0(VALU_DEP_3) | instskip(NEXT) | instid1(VALU_DEP_4)
	v_add_co_u32 v2, vcc_lo, v17, v4
	v_add_co_ci_u32_e32 v4, vcc_lo, 0, v5, vcc_lo
	s_delay_alu instid0(VALU_DEP_2) | instskip(NEXT) | instid1(VALU_DEP_2)
	v_add_co_u32 v2, vcc_lo, v2, v6
	v_add_co_ci_u32_e32 v2, vcc_lo, v4, v7, vcc_lo
	v_add_co_ci_u32_e32 v4, vcc_lo, 0, v9, vcc_lo
	s_delay_alu instid0(VALU_DEP_2) | instskip(NEXT) | instid1(VALU_DEP_2)
	v_add_co_u32 v2, vcc_lo, v2, v8
	v_add_co_ci_u32_e32 v6, vcc_lo, 0, v4, vcc_lo
	s_delay_alu instid0(VALU_DEP_2) | instskip(SKIP_1) | instid1(VALU_DEP_3)
	v_mul_lo_u32 v7, s15, v2
	v_mad_u64_u32 v[4:5], null, s14, v2, 0
	v_mul_lo_u32 v6, s14, v6
	s_delay_alu instid0(VALU_DEP_2) | instskip(NEXT) | instid1(VALU_DEP_2)
	v_sub_co_u32 v4, vcc_lo, v10, v4
	v_add3_u32 v5, v5, v6, v7
	v_add_co_u32 v7, s1, v2, 2
	s_delay_alu instid0(VALU_DEP_2) | instskip(NEXT) | instid1(VALU_DEP_1)
	v_sub_nc_u32_e32 v6, v13, v5
	v_subrev_co_ci_u32_e64 v6, s1, s15, v6, vcc_lo
	v_sub_co_u32 v8, s1, v4, s14
	v_sub_co_ci_u32_e32 v5, vcc_lo, v13, v5, vcc_lo
	s_delay_alu instid0(VALU_DEP_3) | instskip(NEXT) | instid1(VALU_DEP_3)
	v_subrev_co_ci_u32_e64 v6, s1, 0, v6, s1
	v_cmp_le_u32_e32 vcc_lo, s14, v8
	v_cndmask_b32_e64 v8, 0, -1, vcc_lo
	s_delay_alu instid0(VALU_DEP_3)
	v_cmp_le_u32_e32 vcc_lo, s15, v6
	v_cndmask_b32_e64 v9, 0, -1, vcc_lo
	v_cmp_le_u32_e32 vcc_lo, s14, v4
	v_cndmask_b32_e64 v4, 0, -1, vcc_lo
	;; [unrolled: 2-line block ×3, first 2 shown]
	v_cmp_eq_u32_e32 vcc_lo, s15, v6
	v_cndmask_b32_e32 v6, v9, v8, vcc_lo
	v_add_co_u32 v8, vcc_lo, v2, 1
	v_cmp_eq_u32_e32 vcc_lo, s15, v5
	v_cndmask_b32_e32 v4, v10, v4, vcc_lo
	s_delay_alu instid0(VALU_DEP_4) | instskip(NEXT) | instid1(VALU_DEP_4)
	v_cmp_ne_u32_e32 vcc_lo, 0, v6
	v_cndmask_b32_e32 v5, v8, v7, vcc_lo
	s_delay_alu instid0(VALU_DEP_3) | instskip(SKIP_1) | instid1(VALU_DEP_3)
	v_cmp_ne_u32_e32 vcc_lo, 0, v4
	v_xor_b32_e32 v4, s2, v12
	v_cndmask_b32_e32 v2, v2, v5, vcc_lo
	s_delay_alu instid0(VALU_DEP_1) | instskip(NEXT) | instid1(VALU_DEP_1)
	v_xor_b32_e32 v2, v2, v4
	v_sub_co_u32 v6, vcc_lo, v2, v4
                                        ; implicit-def: $vgpr4_vgpr5
.LBB4_6:                                ;   in Loop: Header=BB4_3 Depth=1
	s_and_not1_saveexec_b32 s1, s16
; %bb.7:                                ;   in Loop: Header=BB4_3 Depth=1
	s_delay_alu instid0(VALU_DEP_3) | instskip(NEXT) | instid1(VALU_DEP_1)
	v_mul_hi_u32 v2, v4, v16
	v_mul_lo_u32 v5, v2, s20
	s_delay_alu instid0(VALU_DEP_1) | instskip(SKIP_1) | instid1(VALU_DEP_2)
	v_sub_nc_u32_e32 v4, v4, v5
	v_add_nc_u32_e32 v5, 1, v2
	v_subrev_nc_u32_e32 v6, s20, v4
	v_cmp_le_u32_e32 vcc_lo, s20, v4
	s_delay_alu instid0(VALU_DEP_2) | instskip(NEXT) | instid1(VALU_DEP_4)
	v_cndmask_b32_e32 v4, v4, v6, vcc_lo
	v_cndmask_b32_e32 v2, v2, v5, vcc_lo
	s_delay_alu instid0(VALU_DEP_2) | instskip(NEXT) | instid1(VALU_DEP_2)
	v_cmp_le_u32_e32 vcc_lo, s20, v4
	v_add_nc_u32_e32 v5, 1, v2
	s_delay_alu instid0(VALU_DEP_1)
	v_cndmask_b32_e32 v6, v2, v5, vcc_lo
; %bb.8:                                ;   in Loop: Header=BB4_3 Depth=1
	s_or_b32 exec_lo, exec_lo, s1
	v_sub_nc_u32_e32 v2, 0, v1
	s_mov_b32 s33, 0
	s_delay_alu instid0(VALU_DEP_1) | instskip(NEXT) | instid1(VALU_DEP_1)
	v_max_i32_e32 v2, v1, v2
	v_mul_hi_u32 v4, v2, v14
	s_delay_alu instid0(VALU_DEP_1) | instskip(NEXT) | instid1(VALU_DEP_1)
	v_mul_lo_u32 v5, v4, s21
	v_sub_nc_u32_e32 v2, v2, v5
	s_delay_alu instid0(VALU_DEP_1) | instskip(SKIP_1) | instid1(VALU_DEP_2)
	v_subrev_nc_u32_e32 v7, s21, v2
	v_cmp_le_u32_e32 vcc_lo, s21, v2
	v_dual_cndmask_b32 v2, v2, v7 :: v_dual_add_nc_u32 v5, 1, v4
	s_delay_alu instid0(VALU_DEP_1) | instskip(SKIP_1) | instid1(VALU_DEP_3)
	v_cndmask_b32_e32 v4, v4, v5, vcc_lo
	v_ashrrev_i32_e32 v5, 31, v1
	v_cmp_le_u32_e32 vcc_lo, s21, v2
	s_delay_alu instid0(VALU_DEP_3) | instskip(NEXT) | instid1(VALU_DEP_3)
	v_add_nc_u32_e32 v7, 1, v4
	v_xor_b32_e32 v5, s24, v5
	s_delay_alu instid0(VALU_DEP_2) | instskip(NEXT) | instid1(VALU_DEP_1)
	v_cndmask_b32_e32 v2, v4, v7, vcc_lo
	v_xor_b32_e32 v2, v2, v5
	s_delay_alu instid0(VALU_DEP_1) | instskip(NEXT) | instid1(VALU_DEP_1)
	v_sub_nc_u32_e32 v4, v2, v5
	v_mul_lo_u32 v2, v4, s6
	s_delay_alu instid0(VALU_DEP_1) | instskip(NEXT) | instid1(VALU_DEP_1)
	v_sub_nc_u32_e32 v2, v1, v2
	v_mul_lo_u32 v2, v2, s4
	s_delay_alu instid0(VALU_DEP_1) | instskip(NEXT) | instid1(VALU_DEP_1)
	v_sub_nc_u32_e32 v5, 0, v2
	v_max_i32_e32 v5, v2, v5
	v_ashrrev_i32_e32 v2, 31, v2
	s_delay_alu instid0(VALU_DEP_2) | instskip(NEXT) | instid1(VALU_DEP_2)
	v_mul_hi_u32 v7, v5, v14
	v_xor_b32_e32 v2, s24, v2
	s_delay_alu instid0(VALU_DEP_2) | instskip(NEXT) | instid1(VALU_DEP_1)
	v_mul_lo_u32 v8, v7, s21
	v_sub_nc_u32_e32 v5, v5, v8
	v_add_nc_u32_e32 v8, 1, v7
	s_delay_alu instid0(VALU_DEP_2) | instskip(SKIP_1) | instid1(VALU_DEP_2)
	v_subrev_nc_u32_e32 v9, s21, v5
	v_cmp_le_u32_e32 vcc_lo, s21, v5
	v_cndmask_b32_e32 v5, v5, v9, vcc_lo
	s_delay_alu instid0(VALU_DEP_4) | instskip(NEXT) | instid1(VALU_DEP_2)
	v_cndmask_b32_e32 v7, v7, v8, vcc_lo
	v_cmp_le_u32_e32 vcc_lo, s21, v5
	s_delay_alu instid0(VALU_DEP_2) | instskip(NEXT) | instid1(VALU_DEP_1)
	v_add_nc_u32_e32 v8, 1, v7
	v_cndmask_b32_e32 v5, v7, v8, vcc_lo
	s_delay_alu instid0(VALU_DEP_1) | instskip(NEXT) | instid1(VALU_DEP_1)
	v_xor_b32_e32 v5, v5, v2
	v_sub_nc_u32_e32 v2, v5, v2
	s_delay_alu instid0(VALU_DEP_1) | instskip(NEXT) | instid1(VALU_DEP_1)
	v_mad_u64_u32 v[8:9], null, v4, s4, v[2:3]
	v_sub_nc_u32_e32 v2, v6, v8
	v_mul_lo_u32 v6, v1, s7
	v_ashrrev_i32_e32 v12, 31, v8
	v_mul_lo_u32 v13, s11, v8
	s_delay_alu instid0(VALU_DEP_4) | instskip(SKIP_1) | instid1(VALU_DEP_4)
	v_add_nc_u32_e32 v11, 1, v2
	v_cmp_gt_u32_e64 s1, 0x7fffffff, v2
	v_mul_lo_u32 v12, s10, v12
	v_mov_b32_e32 v2, v0
	v_ashrrev_i32_e32 v7, 31, v6
	v_cvt_f64_i32_e32 v[4:5], v11
	v_max_i32_e32 v19, 1, v11
	s_delay_alu instid0(VALU_DEP_3) | instskip(SKIP_1) | instid1(VALU_DEP_2)
	v_lshlrev_b64 v[9:10], 3, v[6:7]
	v_mad_u64_u32 v[6:7], null, s10, v8, s[8:9]
	v_add_co_u32 v17, vcc_lo, s18, v9
	s_delay_alu instid0(VALU_DEP_3) | instskip(NEXT) | instid1(VALU_DEP_3)
	v_add_co_ci_u32_e32 v18, vcc_lo, s19, v10, vcc_lo
	v_add3_u32 v7, v13, v7, v12
	s_branch .LBB4_11
.LBB4_9:                                ;   in Loop: Header=BB4_11 Depth=2
	s_set_inst_prefetch_distance 0x2
	s_or_b32 exec_lo, exec_lo, s15
.LBB4_10:                               ;   in Loop: Header=BB4_11 Depth=2
	s_delay_alu instid0(SALU_CYCLE_1) | instskip(NEXT) | instid1(VALU_DEP_4)
	s_or_b32 exec_lo, exec_lo, s14
	v_div_scale_f64 v[10:11], null, v[4:5], v[4:5], v[8:9]
	v_div_scale_f64 v[23:24], vcc_lo, v[8:9], v[4:5], v[8:9]
	s_delay_alu instid0(VALU_DEP_2) | instskip(SKIP_2) | instid1(VALU_DEP_1)
	v_rcp_f64_e32 v[12:13], v[10:11]
	s_waitcnt_depctr 0xfff
	v_fma_f64 v[21:22], -v[10:11], v[12:13], 1.0
	v_fma_f64 v[12:13], v[12:13], v[21:22], v[12:13]
	s_delay_alu instid0(VALU_DEP_1) | instskip(NEXT) | instid1(VALU_DEP_1)
	v_fma_f64 v[21:22], -v[10:11], v[12:13], 1.0
	v_fma_f64 v[12:13], v[12:13], v[21:22], v[12:13]
	s_delay_alu instid0(VALU_DEP_1) | instskip(NEXT) | instid1(VALU_DEP_1)
	v_mul_f64 v[21:22], v[23:24], v[12:13]
	v_fma_f64 v[10:11], -v[10:11], v[21:22], v[23:24]
	s_delay_alu instid0(VALU_DEP_1) | instskip(SKIP_1) | instid1(VALU_DEP_2)
	v_div_fmas_f64 v[10:11], v[10:11], v[12:13], v[21:22]
	v_cvt_f64_i32_e32 v[12:13], v20
	v_div_fixup_f64 v[8:9], v[10:11], v[4:5], v[8:9]
	s_delay_alu instid0(VALU_DEP_1) | instskip(NEXT) | instid1(VALU_DEP_1)
	v_div_scale_f64 v[10:11], null, v[12:13], v[12:13], v[8:9]
	v_rcp_f64_e32 v[20:21], v[10:11]
	s_waitcnt_depctr 0xfff
	v_fma_f64 v[22:23], -v[10:11], v[20:21], 1.0
	s_delay_alu instid0(VALU_DEP_1) | instskip(NEXT) | instid1(VALU_DEP_1)
	v_fma_f64 v[20:21], v[20:21], v[22:23], v[20:21]
	v_fma_f64 v[22:23], -v[10:11], v[20:21], 1.0
	s_delay_alu instid0(VALU_DEP_1) | instskip(SKIP_1) | instid1(VALU_DEP_1)
	v_fma_f64 v[20:21], v[20:21], v[22:23], v[20:21]
	v_div_scale_f64 v[22:23], vcc_lo, v[8:9], v[12:13], v[8:9]
	v_mul_f64 v[24:25], v[22:23], v[20:21]
	s_delay_alu instid0(VALU_DEP_1) | instskip(NEXT) | instid1(VALU_DEP_1)
	v_fma_f64 v[10:11], -v[10:11], v[24:25], v[22:23]
	v_div_fmas_f64 v[10:11], v[10:11], v[20:21], v[24:25]
	s_delay_alu instid0(VALU_DEP_1) | instskip(SKIP_2) | instid1(VALU_DEP_1)
	v_div_fixup_f64 v[8:9], v[10:11], v[12:13], v[8:9]
	v_lshlrev_b64 v[10:11], 3, v[2:3]
	v_add_nc_u32_e32 v2, s23, v2
	v_cmp_le_i32_e32 vcc_lo, s7, v2
	s_delay_alu instid0(VALU_DEP_3) | instskip(NEXT) | instid1(VALU_DEP_1)
	v_add_co_u32 v10, s2, v17, v10
	v_add_co_ci_u32_e64 v11, s2, v18, v11, s2
	s_or_b32 s33, vcc_lo, s33
	global_store_b64 v[10:11], v[8:9], off
	s_and_not1_b32 exec_lo, exec_lo, s33
	s_cbranch_execz .LBB4_2
.LBB4_11:                               ;   Parent Loop BB4_3 Depth=1
                                        ; =>  This Loop Header: Depth=2
                                        ;       Child Loop BB4_18 Depth 3
                                        ;         Child Loop BB4_20 Depth 4
	v_add_nc_u32_e32 v12, 1, v2
	s_delay_alu instid0(VALU_DEP_1) | instskip(NEXT) | instid1(VALU_DEP_1)
	v_mad_u64_u32 v[8:9], null, v12, s27, -1
	v_mad_u64_u32 v[10:11], null, v12, s25, v[9:10]
	s_delay_alu instid0(VALU_DEP_1) | instskip(NEXT) | instid1(VALU_DEP_1)
	v_dual_mov_b32 v9, v10 :: v_dual_mov_b32 v10, v3
	v_or_b32_e32 v11, s26, v9
	s_delay_alu instid0(VALU_DEP_1) | instskip(SKIP_1) | instid1(SALU_CYCLE_1)
	v_cmp_ne_u64_e32 vcc_lo, 0, v[10:11]
                                        ; implicit-def: $vgpr10_vgpr11
	s_and_saveexec_b32 s2, vcc_lo
	s_xor_b32 s3, exec_lo, s2
	s_cbranch_execz .LBB4_13
; %bb.12:                               ;   in Loop: Header=BB4_11 Depth=2
	s_add_u32 s16, s28, s26
	s_mov_b32 s14, s26
	s_mov_b32 s15, s26
	s_addc_u32 s17, s26, s26
	s_delay_alu instid0(SALU_CYCLE_1) | instskip(NEXT) | instid1(SALU_CYCLE_1)
	s_xor_b64 s[16:17], s[16:17], s[14:15]
	v_cvt_f32_u32_e32 v10, s16
	v_cvt_f32_u32_e32 v11, s17
	s_sub_u32 s2, 0, s16
	s_subb_u32 s15, 0, s17
	s_delay_alu instid0(VALU_DEP_1) | instskip(NEXT) | instid1(VALU_DEP_1)
	v_fmac_f32_e32 v10, 0x4f800000, v11
	v_rcp_f32_e32 v10, v10
	s_waitcnt_depctr 0xfff
	v_mul_f32_e32 v10, 0x5f7ffffc, v10
	s_delay_alu instid0(VALU_DEP_1) | instskip(NEXT) | instid1(VALU_DEP_1)
	v_mul_f32_e32 v11, 0x2f800000, v10
	v_trunc_f32_e32 v11, v11
	s_delay_alu instid0(VALU_DEP_1) | instskip(SKIP_1) | instid1(VALU_DEP_2)
	v_fmac_f32_e32 v10, 0xcf800000, v11
	v_cvt_u32_f32_e32 v11, v11
	v_cvt_u32_f32_e32 v10, v10
	s_delay_alu instid0(VALU_DEP_2) | instskip(NEXT) | instid1(VALU_DEP_2)
	v_mul_lo_u32 v12, s2, v11
	v_mul_hi_u32 v13, s2, v10
	v_mul_lo_u32 v20, s15, v10
	s_delay_alu instid0(VALU_DEP_2) | instskip(SKIP_1) | instid1(VALU_DEP_2)
	v_add_nc_u32_e32 v12, v13, v12
	v_mul_lo_u32 v13, s2, v10
	v_add_nc_u32_e32 v12, v12, v20
	s_delay_alu instid0(VALU_DEP_2) | instskip(NEXT) | instid1(VALU_DEP_2)
	v_mul_hi_u32 v20, v10, v13
	v_mul_lo_u32 v21, v10, v12
	v_mul_hi_u32 v22, v10, v12
	v_mul_hi_u32 v23, v11, v13
	v_mul_lo_u32 v13, v11, v13
	v_mul_hi_u32 v24, v11, v12
	v_mul_lo_u32 v12, v11, v12
	v_add_co_u32 v20, vcc_lo, v20, v21
	v_add_co_ci_u32_e32 v21, vcc_lo, 0, v22, vcc_lo
	s_delay_alu instid0(VALU_DEP_2) | instskip(NEXT) | instid1(VALU_DEP_2)
	v_add_co_u32 v13, vcc_lo, v20, v13
	v_add_co_ci_u32_e32 v13, vcc_lo, v21, v23, vcc_lo
	v_add_co_ci_u32_e32 v20, vcc_lo, 0, v24, vcc_lo
	v_ashrrev_i32_e32 v23, 31, v9
	s_delay_alu instid0(VALU_DEP_3) | instskip(NEXT) | instid1(VALU_DEP_3)
	v_add_co_u32 v12, vcc_lo, v13, v12
	v_add_co_ci_u32_e32 v13, vcc_lo, 0, v20, vcc_lo
	s_delay_alu instid0(VALU_DEP_2) | instskip(NEXT) | instid1(VALU_DEP_2)
	v_add_co_u32 v10, vcc_lo, v10, v12
	v_add_co_ci_u32_e32 v11, vcc_lo, v11, v13, vcc_lo
	s_delay_alu instid0(VALU_DEP_2) | instskip(SKIP_1) | instid1(VALU_DEP_3)
	v_mul_hi_u32 v12, s2, v10
	v_mul_lo_u32 v20, s15, v10
	v_mul_lo_u32 v13, s2, v11
	s_delay_alu instid0(VALU_DEP_1) | instskip(SKIP_1) | instid1(VALU_DEP_2)
	v_add_nc_u32_e32 v12, v12, v13
	v_mul_lo_u32 v13, s2, v10
	v_add_nc_u32_e32 v12, v12, v20
	s_delay_alu instid0(VALU_DEP_2) | instskip(NEXT) | instid1(VALU_DEP_2)
	v_mul_hi_u32 v20, v10, v13
	v_mul_lo_u32 v21, v10, v12
	v_mul_hi_u32 v22, v10, v12
	v_mul_hi_u32 v24, v11, v13
	v_mul_lo_u32 v13, v11, v13
	v_mul_hi_u32 v25, v11, v12
	v_mul_lo_u32 v12, v11, v12
	v_add_co_u32 v20, vcc_lo, v20, v21
	v_add_co_ci_u32_e32 v21, vcc_lo, 0, v22, vcc_lo
	s_delay_alu instid0(VALU_DEP_2) | instskip(NEXT) | instid1(VALU_DEP_2)
	v_add_co_u32 v13, vcc_lo, v20, v13
	v_add_co_ci_u32_e32 v13, vcc_lo, v21, v24, vcc_lo
	v_add_co_ci_u32_e32 v20, vcc_lo, 0, v25, vcc_lo
	v_add_co_u32 v8, vcc_lo, v8, v23
	v_add_co_ci_u32_e32 v9, vcc_lo, v9, v23, vcc_lo
	s_delay_alu instid0(VALU_DEP_4) | instskip(NEXT) | instid1(VALU_DEP_4)
	v_add_co_u32 v12, vcc_lo, v13, v12
	v_add_co_ci_u32_e32 v13, vcc_lo, 0, v20, vcc_lo
	s_delay_alu instid0(VALU_DEP_4) | instskip(NEXT) | instid1(VALU_DEP_3)
	v_xor_b32_e32 v20, v8, v23
	v_add_co_u32 v12, vcc_lo, v10, v12
	s_delay_alu instid0(VALU_DEP_3) | instskip(SKIP_1) | instid1(VALU_DEP_3)
	v_add_co_ci_u32_e32 v21, vcc_lo, v11, v13, vcc_lo
	v_xor_b32_e32 v22, v9, v23
	v_mul_hi_u32 v24, v20, v12
	s_delay_alu instid0(VALU_DEP_3) | instskip(NEXT) | instid1(VALU_DEP_3)
	v_mad_u64_u32 v[8:9], null, v20, v21, 0
	v_mad_u64_u32 v[10:11], null, v22, v12, 0
	;; [unrolled: 1-line block ×3, first 2 shown]
	s_delay_alu instid0(VALU_DEP_3) | instskip(NEXT) | instid1(VALU_DEP_4)
	v_add_co_u32 v8, vcc_lo, v24, v8
	v_add_co_ci_u32_e32 v9, vcc_lo, 0, v9, vcc_lo
	s_delay_alu instid0(VALU_DEP_2) | instskip(NEXT) | instid1(VALU_DEP_2)
	v_add_co_u32 v8, vcc_lo, v8, v10
	v_add_co_ci_u32_e32 v8, vcc_lo, v9, v11, vcc_lo
	v_add_co_ci_u32_e32 v9, vcc_lo, 0, v13, vcc_lo
	s_delay_alu instid0(VALU_DEP_2) | instskip(NEXT) | instid1(VALU_DEP_2)
	v_add_co_u32 v10, vcc_lo, v8, v12
	v_add_co_ci_u32_e32 v11, vcc_lo, 0, v9, vcc_lo
	s_delay_alu instid0(VALU_DEP_2) | instskip(SKIP_1) | instid1(VALU_DEP_3)
	v_mul_lo_u32 v12, s17, v10
	v_mad_u64_u32 v[8:9], null, s16, v10, 0
	v_mul_lo_u32 v11, s16, v11
	s_delay_alu instid0(VALU_DEP_2) | instskip(NEXT) | instid1(VALU_DEP_2)
	v_sub_co_u32 v8, vcc_lo, v20, v8
	v_add3_u32 v9, v9, v11, v12
	v_add_co_u32 v12, s2, v10, 2
	s_delay_alu instid0(VALU_DEP_2) | instskip(NEXT) | instid1(VALU_DEP_1)
	v_sub_nc_u32_e32 v11, v22, v9
	v_subrev_co_ci_u32_e64 v11, s2, s17, v11, vcc_lo
	v_sub_co_u32 v13, s2, v8, s16
	v_sub_co_ci_u32_e32 v9, vcc_lo, v22, v9, vcc_lo
	s_delay_alu instid0(VALU_DEP_3) | instskip(NEXT) | instid1(VALU_DEP_3)
	v_subrev_co_ci_u32_e64 v11, s2, 0, v11, s2
	v_cmp_le_u32_e32 vcc_lo, s16, v13
	v_cndmask_b32_e64 v13, 0, -1, vcc_lo
	s_delay_alu instid0(VALU_DEP_3)
	v_cmp_le_u32_e32 vcc_lo, s17, v11
	v_cndmask_b32_e64 v20, 0, -1, vcc_lo
	v_cmp_le_u32_e32 vcc_lo, s16, v8
	v_cndmask_b32_e64 v8, 0, -1, vcc_lo
	;; [unrolled: 2-line block ×3, first 2 shown]
	v_cmp_eq_u32_e32 vcc_lo, s17, v11
	v_cndmask_b32_e32 v11, v20, v13, vcc_lo
	v_add_co_u32 v13, vcc_lo, v10, 1
	v_cmp_eq_u32_e32 vcc_lo, s17, v9
	v_cndmask_b32_e32 v8, v21, v8, vcc_lo
	s_delay_alu instid0(VALU_DEP_4) | instskip(NEXT) | instid1(VALU_DEP_4)
	v_cmp_ne_u32_e32 vcc_lo, 0, v11
	v_cndmask_b32_e32 v9, v13, v12, vcc_lo
	s_delay_alu instid0(VALU_DEP_3) | instskip(NEXT) | instid1(VALU_DEP_2)
	v_cmp_ne_u32_e32 vcc_lo, 0, v8
	v_cndmask_b32_e32 v8, v10, v9, vcc_lo
	v_xor_b32_e32 v9, s14, v23
	s_delay_alu instid0(VALU_DEP_1) | instskip(NEXT) | instid1(VALU_DEP_1)
	v_xor_b32_e32 v8, v8, v9
	v_sub_co_u32 v10, vcc_lo, v8, v9
                                        ; implicit-def: $vgpr8_vgpr9
.LBB4_13:                               ;   in Loop: Header=BB4_11 Depth=2
	s_and_not1_saveexec_b32 s2, s3
	s_cbranch_execz .LBB4_15
; %bb.14:                               ;   in Loop: Header=BB4_11 Depth=2
	v_cvt_f32_u32_e32 v9, s28
	s_sub_i32 s3, 0, s28
	s_delay_alu instid0(VALU_DEP_1) | instskip(SKIP_2) | instid1(VALU_DEP_1)
	v_rcp_iflag_f32_e32 v9, v9
	s_waitcnt_depctr 0xfff
	v_mul_f32_e32 v9, 0x4f7ffffe, v9
	v_cvt_u32_f32_e32 v9, v9
	s_delay_alu instid0(VALU_DEP_1) | instskip(NEXT) | instid1(VALU_DEP_1)
	v_mul_lo_u32 v10, s3, v9
	v_mul_hi_u32 v10, v9, v10
	s_delay_alu instid0(VALU_DEP_1) | instskip(NEXT) | instid1(VALU_DEP_1)
	v_add_nc_u32_e32 v9, v9, v10
	v_mul_hi_u32 v9, v8, v9
	s_delay_alu instid0(VALU_DEP_1) | instskip(NEXT) | instid1(VALU_DEP_1)
	v_mul_lo_u32 v10, v9, s28
	v_sub_nc_u32_e32 v8, v8, v10
	v_add_nc_u32_e32 v10, 1, v9
	s_delay_alu instid0(VALU_DEP_2) | instskip(SKIP_1) | instid1(VALU_DEP_2)
	v_subrev_nc_u32_e32 v11, s28, v8
	v_cmp_le_u32_e32 vcc_lo, s28, v8
	v_dual_cndmask_b32 v8, v8, v11 :: v_dual_cndmask_b32 v9, v9, v10
	s_delay_alu instid0(VALU_DEP_1) | instskip(NEXT) | instid1(VALU_DEP_2)
	v_cmp_le_u32_e32 vcc_lo, s28, v8
	v_add_nc_u32_e32 v10, 1, v9
	s_delay_alu instid0(VALU_DEP_1)
	v_cndmask_b32_e32 v10, v9, v10, vcc_lo
.LBB4_15:                               ;   in Loop: Header=BB4_11 Depth=2
	s_or_b32 exec_lo, exec_lo, s2
	v_mul_lo_u32 v8, v2, s5
	v_mul_hi_u32 v11, v2, v15
	s_delay_alu instid0(VALU_DEP_2) | instskip(NEXT) | instid1(VALU_DEP_2)
	v_sub_nc_u32_e32 v9, 0, v8
	v_mul_lo_u32 v13, v11, s22
	v_add_nc_u32_e32 v21, 1, v11
	s_delay_alu instid0(VALU_DEP_3) | instskip(SKIP_1) | instid1(VALU_DEP_4)
	v_max_i32_e32 v9, v8, v9
	v_ashrrev_i32_e32 v8, 31, v8
	v_sub_nc_u32_e32 v13, v2, v13
	s_delay_alu instid0(VALU_DEP_3) | instskip(NEXT) | instid1(VALU_DEP_3)
	v_mul_hi_u32 v12, v9, v15
	v_xor_b32_e32 v8, s26, v8
	s_delay_alu instid0(VALU_DEP_3) | instskip(NEXT) | instid1(VALU_DEP_3)
	v_cmp_le_u32_e32 vcc_lo, s22, v13
	v_mul_lo_u32 v20, v12, s22
	v_cndmask_b32_e32 v11, v11, v21, vcc_lo
	v_subrev_nc_u32_e32 v21, s22, v13
	s_delay_alu instid0(VALU_DEP_1) | instskip(NEXT) | instid1(VALU_DEP_4)
	v_cndmask_b32_e32 v13, v13, v21, vcc_lo
	v_sub_nc_u32_e32 v9, v9, v20
	v_add_nc_u32_e32 v20, 1, v12
	s_delay_alu instid0(VALU_DEP_2) | instskip(SKIP_1) | instid1(VALU_DEP_1)
	v_subrev_nc_u32_e32 v22, s22, v9
	v_cmp_le_u32_e64 s2, s22, v9
	v_cndmask_b32_e64 v12, v12, v20, s2
	v_add_nc_u32_e32 v20, 1, v11
	s_delay_alu instid0(VALU_DEP_4) | instskip(SKIP_1) | instid1(VALU_DEP_4)
	v_cndmask_b32_e64 v9, v9, v22, s2
	v_cmp_le_u32_e32 vcc_lo, s22, v13
	v_add_nc_u32_e32 v21, 1, v12
	s_delay_alu instid0(VALU_DEP_4) | instskip(NEXT) | instid1(VALU_DEP_4)
	v_cndmask_b32_e32 v11, v11, v20, vcc_lo
	v_cmp_le_u32_e32 vcc_lo, s22, v9
	s_delay_alu instid0(VALU_DEP_2) | instskip(NEXT) | instid1(VALU_DEP_4)
	v_xor_b32_e32 v11, s26, v11
	v_cndmask_b32_e32 v9, v12, v21, vcc_lo
	s_delay_alu instid0(VALU_DEP_2) | instskip(NEXT) | instid1(VALU_DEP_2)
	v_subrev_nc_u32_e32 v11, s26, v11
	v_xor_b32_e32 v9, v9, v8
	s_delay_alu instid0(VALU_DEP_1) | instskip(NEXT) | instid1(VALU_DEP_1)
	v_sub_nc_u32_e32 v8, v9, v8
	v_mad_u64_u32 v[12:13], null, v11, s5, v[8:9]
	v_mov_b32_e32 v8, 0
	v_mov_b32_e32 v9, 0
	s_delay_alu instid0(VALU_DEP_3) | instskip(NEXT) | instid1(VALU_DEP_1)
	v_sub_nc_u32_e32 v13, v10, v12
	v_add_nc_u32_e32 v20, 1, v13
	s_and_saveexec_b32 s14, s1
	s_cbranch_execz .LBB4_10
; %bb.16:                               ;   in Loop: Header=BB4_11 Depth=2
	v_ashrrev_i32_e32 v8, 31, v12
	v_mad_u64_u32 v[10:11], null, s12, v12, v[6:7]
	v_mul_lo_u32 v12, s13, v12
	v_cmp_gt_u32_e32 vcc_lo, 0x7fffffff, v13
	s_delay_alu instid0(VALU_DEP_4)
	v_mul_lo_u32 v22, s12, v8
	v_mov_b32_e32 v8, 0
	v_max_i32_e32 v21, 1, v20
	v_mov_b32_e32 v9, 0
	s_mov_b32 s15, 0
	s_mov_b32 s16, 0
	s_delay_alu instid0(VALU_DEP_4)
	v_add3_u32 v11, v12, v11, v22
	s_set_inst_prefetch_distance 0x1
	s_branch .LBB4_18
	.p2align	6
.LBB4_17:                               ;   in Loop: Header=BB4_18 Depth=3
	s_or_b32 exec_lo, exec_lo, s17
	s_add_i32 s16, s16, 1
	v_add_co_u32 v10, s3, v10, s10
	v_cmp_eq_u32_e64 s2, s16, v19
	v_add_co_ci_u32_e64 v11, s3, s11, v11, s3
	s_delay_alu instid0(VALU_DEP_2) | instskip(NEXT) | instid1(SALU_CYCLE_1)
	s_or_b32 s15, s2, s15
	s_and_not1_b32 exec_lo, exec_lo, s15
	s_cbranch_execz .LBB4_9
.LBB4_18:                               ;   Parent Loop BB4_3 Depth=1
                                        ;     Parent Loop BB4_11 Depth=2
                                        ; =>    This Loop Header: Depth=3
                                        ;         Child Loop BB4_20 Depth 4
	s_and_saveexec_b32 s17, vcc_lo
	s_cbranch_execz .LBB4_17
; %bb.19:                               ;   in Loop: Header=BB4_18 Depth=3
	v_dual_mov_b32 v13, v11 :: v_dual_mov_b32 v12, v10
	v_mov_b32_e32 v22, v21
	s_mov_b32 s34, 0
.LBB4_20:                               ;   Parent Loop BB4_3 Depth=1
                                        ;     Parent Loop BB4_11 Depth=2
                                        ;       Parent Loop BB4_18 Depth=3
                                        ; =>      This Inner Loop Header: Depth=4
	global_load_b64 v[23:24], v[12:13], off
	v_add_nc_u32_e32 v22, -1, v22
	v_add_co_u32 v12, s3, v12, s12
	s_delay_alu instid0(VALU_DEP_1) | instskip(NEXT) | instid1(VALU_DEP_3)
	v_add_co_ci_u32_e64 v13, s3, s13, v13, s3
	v_cmp_eq_u32_e64 s2, 0, v22
	s_delay_alu instid0(VALU_DEP_1)
	s_or_b32 s34, s2, s34
	s_waitcnt vmcnt(0)
	v_add_f64 v[8:9], v[8:9], v[23:24]
	s_and_not1_b32 exec_lo, exec_lo, s34
	s_cbranch_execnz .LBB4_20
; %bb.21:                               ;   in Loop: Header=BB4_18 Depth=3
	s_or_b32 exec_lo, exec_lo, s34
	s_branch .LBB4_17
.LBB4_22:
	s_nop 0
	s_sendmsg sendmsg(MSG_DEALLOC_VGPRS)
	s_endpgm
	.section	.rodata,"a",@progbits
	.p2align	6, 0x0
	.amdhsa_kernel _ZN2at6native12_GLOBAL__N_121adaptive_average_poolIdEEvPKT_PS3_iiiilll
		.amdhsa_group_segment_fixed_size 0
		.amdhsa_private_segment_fixed_size 0
		.amdhsa_kernarg_size 312
		.amdhsa_user_sgpr_count 14
		.amdhsa_user_sgpr_dispatch_ptr 0
		.amdhsa_user_sgpr_queue_ptr 0
		.amdhsa_user_sgpr_kernarg_segment_ptr 1
		.amdhsa_user_sgpr_dispatch_id 0
		.amdhsa_user_sgpr_private_segment_size 0
		.amdhsa_wavefront_size32 1
		.amdhsa_uses_dynamic_stack 0
		.amdhsa_enable_private_segment 0
		.amdhsa_system_sgpr_workgroup_id_x 1
		.amdhsa_system_sgpr_workgroup_id_y 1
		.amdhsa_system_sgpr_workgroup_id_z 0
		.amdhsa_system_sgpr_workgroup_info 0
		.amdhsa_system_vgpr_workitem_id 1
		.amdhsa_next_free_vgpr 26
		.amdhsa_next_free_sgpr 36
		.amdhsa_reserve_vcc 1
		.amdhsa_float_round_mode_32 0
		.amdhsa_float_round_mode_16_64 0
		.amdhsa_float_denorm_mode_32 3
		.amdhsa_float_denorm_mode_16_64 3
		.amdhsa_dx10_clamp 1
		.amdhsa_ieee_mode 1
		.amdhsa_fp16_overflow 0
		.amdhsa_workgroup_processor_mode 1
		.amdhsa_memory_ordered 1
		.amdhsa_forward_progress 0
		.amdhsa_shared_vgpr_count 0
		.amdhsa_exception_fp_ieee_invalid_op 0
		.amdhsa_exception_fp_denorm_src 0
		.amdhsa_exception_fp_ieee_div_zero 0
		.amdhsa_exception_fp_ieee_overflow 0
		.amdhsa_exception_fp_ieee_underflow 0
		.amdhsa_exception_fp_ieee_inexact 0
		.amdhsa_exception_int_div_zero 0
	.end_amdhsa_kernel
	.section	.text._ZN2at6native12_GLOBAL__N_121adaptive_average_poolIdEEvPKT_PS3_iiiilll,"axG",@progbits,_ZN2at6native12_GLOBAL__N_121adaptive_average_poolIdEEvPKT_PS3_iiiilll,comdat
.Lfunc_end4:
	.size	_ZN2at6native12_GLOBAL__N_121adaptive_average_poolIdEEvPKT_PS3_iiiilll, .Lfunc_end4-_ZN2at6native12_GLOBAL__N_121adaptive_average_poolIdEEvPKT_PS3_iiiilll
                                        ; -- End function
	.section	.AMDGPU.csdata,"",@progbits
; Kernel info:
; codeLenInByte = 3456
; NumSgprs: 38
; NumVgprs: 26
; ScratchSize: 0
; MemoryBound: 0
; FloatMode: 240
; IeeeMode: 1
; LDSByteSize: 0 bytes/workgroup (compile time only)
; SGPRBlocks: 4
; VGPRBlocks: 3
; NumSGPRsForWavesPerEU: 38
; NumVGPRsForWavesPerEU: 26
; Occupancy: 16
; WaveLimiterHint : 0
; COMPUTE_PGM_RSRC2:SCRATCH_EN: 0
; COMPUTE_PGM_RSRC2:USER_SGPR: 14
; COMPUTE_PGM_RSRC2:TRAP_HANDLER: 0
; COMPUTE_PGM_RSRC2:TGID_X_EN: 1
; COMPUTE_PGM_RSRC2:TGID_Y_EN: 1
; COMPUTE_PGM_RSRC2:TGID_Z_EN: 0
; COMPUTE_PGM_RSRC2:TIDIG_COMP_CNT: 1
	.section	.text._ZN2at6native12_GLOBAL__N_121adaptive_average_poolIfEEvPKT_PS3_iiiilll,"axG",@progbits,_ZN2at6native12_GLOBAL__N_121adaptive_average_poolIfEEvPKT_PS3_iiiilll,comdat
	.globl	_ZN2at6native12_GLOBAL__N_121adaptive_average_poolIfEEvPKT_PS3_iiiilll ; -- Begin function _ZN2at6native12_GLOBAL__N_121adaptive_average_poolIfEEvPKT_PS3_iiiilll
	.p2align	8
	.type	_ZN2at6native12_GLOBAL__N_121adaptive_average_poolIfEEvPKT_PS3_iiiilll,@function
_ZN2at6native12_GLOBAL__N_121adaptive_average_poolIfEEvPKT_PS3_iiiilll: ; @_ZN2at6native12_GLOBAL__N_121adaptive_average_poolIfEEvPKT_PS3_iiiilll
; %bb.0:
	s_clause 0x1
	s_load_b32 s13, s[0:1], 0x44
	s_load_b128 s[4:7], s[0:1], 0x10
	v_bfe_u32 v3, v0, 10, 10
	s_add_u32 s2, s0, 56
	s_addc_u32 s3, s1, 0
	s_mov_b32 s8, exec_lo
	s_waitcnt lgkmcnt(0)
	s_lshr_b32 s12, s13, 16
	s_delay_alu instid0(SALU_CYCLE_1) | instskip(NEXT) | instid1(VALU_DEP_1)
	v_mad_u64_u32 v[1:2], null, s15, s12, v[3:4]
	v_cmpx_gt_i32_e64 s6, v1
	s_cbranch_execz .LBB5_22
; %bb.1:
	s_clause 0x1
	s_load_b128 s[16:19], s[0:1], 0x0
	s_load_b128 s[8:11], s[0:1], 0x20
	s_mul_i32 s15, s14, s6
	s_load_b64 s[34:35], s[0:1], 0x30
	s_mul_i32 s22, s15, s7
	s_mov_b32 s20, s6
	s_ashr_i32 s23, s22, 31
	v_cvt_f32_u32_e32 v2, s20
	s_lshl_b64 s[0:1], s[22:23], 2
	s_load_b32 s29, s[2:3], 0x4
	v_and_b32_e32 v0, 0x3ff, v0
	s_mov_b32 s27, s5
	v_rcp_iflag_f32_e32 v2, v2
	s_mov_b32 s28, s7
	s_mov_b32 s30, 0
	s_waitcnt lgkmcnt(0)
	s_add_u32 s18, s18, s0
	s_addc_u32 s19, s19, s1
	s_abs_i32 s21, s6
	s_abs_i32 s22, s7
	v_cvt_f32_u32_e32 v3, s21
	v_cvt_f32_u32_e32 v4, s22
	s_and_b32 s23, s13, 0xffff
	s_sub_i32 s13, 0, s21
	s_ashr_i32 s3, s14, 31
	v_rcp_iflag_f32_e32 v3, v3
	s_waitcnt_depctr 0xfff
	v_mul_f32_e32 v2, 0x4f7ffffe, v2
	v_rcp_iflag_f32_e32 v4, v4
	s_mul_hi_u32 s2, s8, s14
	s_mul_i32 s3, s8, s3
	s_mul_i32 s1, s9, s14
	s_add_i32 s2, s2, s3
	s_mul_i32 s0, s8, s14
	s_add_i32 s1, s2, s1
	s_ashr_i32 s24, s6, 31
	v_mul_f32_e32 v3, 0x4f7ffffe, v3
	v_cvt_u32_f32_e32 v2, v2
	s_waitcnt_depctr 0xfff
	v_mul_f32_e32 v4, 0x4f7ffffe, v4
	s_lshl_b64 s[0:1], s[0:1], 2
	s_ashr_i32 s25, s5, 31
	v_cvt_u32_f32_e32 v5, v3
	s_ashr_i32 s26, s7, 31
	s_sub_i32 s2, 0, s22
	s_add_u32 s8, s16, s0
	s_addc_u32 s9, s17, s1
	v_mul_lo_u32 v3, s13, v5
	s_sub_i32 s0, 0, s6
	s_mul_i32 s29, s29, s12
	v_mul_lo_u32 v7, s0, v2
	v_cmp_gt_i32_e64 s0, s7, v0
	s_lshl_b64 s[10:11], s[10:11], 2
	s_lshl_b64 s[12:13], s[34:35], 2
	s_delay_alu instid0(VALU_DEP_3) | instskip(SKIP_3) | instid1(VALU_DEP_2)
	v_mul_hi_u32 v8, v5, v3
	v_mov_b32_e32 v3, 0
	v_cvt_u32_f32_e32 v4, v4
	v_mul_hi_u32 v7, v2, v7
	v_mul_lo_u32 v6, s2, v4
	v_add_nc_u32_e32 v11, v5, v8
	s_delay_alu instid0(VALU_DEP_3) | instskip(NEXT) | instid1(VALU_DEP_3)
	v_add_nc_u32_e32 v13, v2, v7
	v_mul_hi_u32 v6, v4, v6
	s_delay_alu instid0(VALU_DEP_1)
	v_add_nc_u32_e32 v12, v4, v6
	s_branch .LBB5_3
.LBB5_2:                                ;   in Loop: Header=BB5_3 Depth=1
	s_or_b32 exec_lo, exec_lo, s31
	v_add_nc_u32_e32 v1, s29, v1
	s_delay_alu instid0(VALU_DEP_1) | instskip(SKIP_1) | instid1(SALU_CYCLE_1)
	v_cmp_le_i32_e32 vcc_lo, s6, v1
	s_or_b32 s30, vcc_lo, s30
	s_and_not1_b32 exec_lo, exec_lo, s30
	s_cbranch_execz .LBB5_22
.LBB5_3:                                ; =>This Loop Header: Depth=1
                                        ;     Child Loop BB5_11 Depth 2
                                        ;       Child Loop BB5_18 Depth 3
                                        ;         Child Loop BB5_20 Depth 4
	s_and_saveexec_b32 s31, s0
	s_cbranch_execz .LBB5_2
; %bb.4:                                ;   in Loop: Header=BB5_3 Depth=1
	v_add_nc_u32_e32 v2, 1, v1
	v_mov_b32_e32 v6, v3
	s_delay_alu instid0(VALU_DEP_2) | instskip(NEXT) | instid1(VALU_DEP_1)
	v_mad_i64_i32 v[4:5], null, v2, s4, -1
	v_or_b32_e32 v7, s24, v5
	s_delay_alu instid0(VALU_DEP_1) | instskip(SKIP_1) | instid1(SALU_CYCLE_1)
	v_cmp_ne_u64_e32 vcc_lo, 0, v[6:7]
                                        ; implicit-def: $vgpr6_vgpr7
	s_and_saveexec_b32 s1, vcc_lo
	s_xor_b32 s16, exec_lo, s1
	s_cbranch_execz .LBB5_6
; %bb.5:                                ;   in Loop: Header=BB5_3 Depth=1
	s_add_u32 s14, s20, s24
	s_mov_b32 s2, s24
	s_mov_b32 s3, s24
	s_addc_u32 s15, s24, s24
	s_delay_alu instid0(SALU_CYCLE_1) | instskip(NEXT) | instid1(SALU_CYCLE_1)
	s_xor_b64 s[14:15], s[14:15], s[2:3]
	v_cvt_f32_u32_e32 v2, s14
	v_cvt_f32_u32_e32 v6, s15
	s_sub_u32 s1, 0, s14
	s_subb_u32 s3, 0, s15
	s_delay_alu instid0(VALU_DEP_1) | instskip(NEXT) | instid1(VALU_DEP_1)
	v_fmac_f32_e32 v2, 0x4f800000, v6
	v_rcp_f32_e32 v2, v2
	s_waitcnt_depctr 0xfff
	v_mul_f32_e32 v2, 0x5f7ffffc, v2
	s_delay_alu instid0(VALU_DEP_1) | instskip(NEXT) | instid1(VALU_DEP_1)
	v_mul_f32_e32 v6, 0x2f800000, v2
	v_trunc_f32_e32 v6, v6
	s_delay_alu instid0(VALU_DEP_1) | instskip(SKIP_1) | instid1(VALU_DEP_2)
	v_fmac_f32_e32 v2, 0xcf800000, v6
	v_cvt_u32_f32_e32 v6, v6
	v_cvt_u32_f32_e32 v2, v2
	s_delay_alu instid0(VALU_DEP_2) | instskip(NEXT) | instid1(VALU_DEP_2)
	v_mul_lo_u32 v7, s1, v6
	v_mul_hi_u32 v8, s1, v2
	v_mul_lo_u32 v9, s3, v2
	s_delay_alu instid0(VALU_DEP_2) | instskip(SKIP_1) | instid1(VALU_DEP_2)
	v_add_nc_u32_e32 v7, v8, v7
	v_mul_lo_u32 v8, s1, v2
	v_add_nc_u32_e32 v7, v7, v9
	s_delay_alu instid0(VALU_DEP_2) | instskip(NEXT) | instid1(VALU_DEP_2)
	v_mul_hi_u32 v9, v2, v8
	v_mul_lo_u32 v10, v2, v7
	v_mul_hi_u32 v14, v2, v7
	v_mul_hi_u32 v15, v6, v8
	v_mul_lo_u32 v8, v6, v8
	v_mul_hi_u32 v16, v6, v7
	v_mul_lo_u32 v7, v6, v7
	v_add_co_u32 v9, vcc_lo, v9, v10
	v_add_co_ci_u32_e32 v10, vcc_lo, 0, v14, vcc_lo
	s_delay_alu instid0(VALU_DEP_2) | instskip(NEXT) | instid1(VALU_DEP_2)
	v_add_co_u32 v8, vcc_lo, v9, v8
	v_add_co_ci_u32_e32 v8, vcc_lo, v10, v15, vcc_lo
	v_add_co_ci_u32_e32 v9, vcc_lo, 0, v16, vcc_lo
	v_ashrrev_i32_e32 v15, 31, v5
	s_delay_alu instid0(VALU_DEP_3) | instskip(NEXT) | instid1(VALU_DEP_3)
	v_add_co_u32 v7, vcc_lo, v8, v7
	v_add_co_ci_u32_e32 v8, vcc_lo, 0, v9, vcc_lo
	s_delay_alu instid0(VALU_DEP_2) | instskip(NEXT) | instid1(VALU_DEP_2)
	v_add_co_u32 v2, vcc_lo, v2, v7
	v_add_co_ci_u32_e32 v6, vcc_lo, v6, v8, vcc_lo
	s_delay_alu instid0(VALU_DEP_2) | instskip(SKIP_1) | instid1(VALU_DEP_3)
	v_mul_hi_u32 v7, s1, v2
	v_mul_lo_u32 v9, s3, v2
	v_mul_lo_u32 v8, s1, v6
	s_delay_alu instid0(VALU_DEP_1) | instskip(SKIP_1) | instid1(VALU_DEP_2)
	v_add_nc_u32_e32 v7, v7, v8
	v_mul_lo_u32 v8, s1, v2
	v_add_nc_u32_e32 v7, v7, v9
	s_delay_alu instid0(VALU_DEP_2) | instskip(NEXT) | instid1(VALU_DEP_2)
	v_mul_hi_u32 v9, v2, v8
	v_mul_lo_u32 v10, v2, v7
	v_mul_hi_u32 v14, v2, v7
	v_mul_hi_u32 v16, v6, v8
	v_mul_lo_u32 v8, v6, v8
	v_mul_hi_u32 v17, v6, v7
	v_mul_lo_u32 v7, v6, v7
	v_add_co_u32 v9, vcc_lo, v9, v10
	v_add_co_ci_u32_e32 v10, vcc_lo, 0, v14, vcc_lo
	s_delay_alu instid0(VALU_DEP_2) | instskip(NEXT) | instid1(VALU_DEP_2)
	v_add_co_u32 v8, vcc_lo, v9, v8
	v_add_co_ci_u32_e32 v8, vcc_lo, v10, v16, vcc_lo
	v_add_co_ci_u32_e32 v9, vcc_lo, 0, v17, vcc_lo
	v_add_co_u32 v4, vcc_lo, v4, v15
	v_add_co_ci_u32_e32 v5, vcc_lo, v5, v15, vcc_lo
	s_delay_alu instid0(VALU_DEP_4) | instskip(NEXT) | instid1(VALU_DEP_4)
	v_add_co_u32 v7, vcc_lo, v8, v7
	v_add_co_ci_u32_e32 v8, vcc_lo, 0, v9, vcc_lo
	s_delay_alu instid0(VALU_DEP_4) | instskip(NEXT) | instid1(VALU_DEP_3)
	v_xor_b32_e32 v10, v4, v15
	v_add_co_u32 v2, vcc_lo, v2, v7
	s_delay_alu instid0(VALU_DEP_3) | instskip(SKIP_1) | instid1(VALU_DEP_3)
	v_add_co_ci_u32_e32 v14, vcc_lo, v6, v8, vcc_lo
	v_xor_b32_e32 v16, v5, v15
	v_mul_hi_u32 v17, v10, v2
	s_delay_alu instid0(VALU_DEP_3) | instskip(NEXT) | instid1(VALU_DEP_3)
	v_mad_u64_u32 v[4:5], null, v10, v14, 0
	v_mad_u64_u32 v[6:7], null, v16, v2, 0
	;; [unrolled: 1-line block ×3, first 2 shown]
	s_delay_alu instid0(VALU_DEP_3) | instskip(NEXT) | instid1(VALU_DEP_4)
	v_add_co_u32 v2, vcc_lo, v17, v4
	v_add_co_ci_u32_e32 v4, vcc_lo, 0, v5, vcc_lo
	s_delay_alu instid0(VALU_DEP_2) | instskip(NEXT) | instid1(VALU_DEP_2)
	v_add_co_u32 v2, vcc_lo, v2, v6
	v_add_co_ci_u32_e32 v2, vcc_lo, v4, v7, vcc_lo
	v_add_co_ci_u32_e32 v4, vcc_lo, 0, v9, vcc_lo
	s_delay_alu instid0(VALU_DEP_2) | instskip(NEXT) | instid1(VALU_DEP_2)
	v_add_co_u32 v2, vcc_lo, v2, v8
	v_add_co_ci_u32_e32 v6, vcc_lo, 0, v4, vcc_lo
	s_delay_alu instid0(VALU_DEP_2) | instskip(SKIP_1) | instid1(VALU_DEP_3)
	v_mul_lo_u32 v7, s15, v2
	v_mad_u64_u32 v[4:5], null, s14, v2, 0
	v_mul_lo_u32 v6, s14, v6
	s_delay_alu instid0(VALU_DEP_2) | instskip(NEXT) | instid1(VALU_DEP_2)
	v_sub_co_u32 v4, vcc_lo, v10, v4
	v_add3_u32 v5, v5, v6, v7
	v_add_co_u32 v7, s1, v2, 2
	s_delay_alu instid0(VALU_DEP_2) | instskip(NEXT) | instid1(VALU_DEP_1)
	v_sub_nc_u32_e32 v6, v16, v5
	v_subrev_co_ci_u32_e64 v6, s1, s15, v6, vcc_lo
	v_sub_co_u32 v8, s1, v4, s14
	v_sub_co_ci_u32_e32 v5, vcc_lo, v16, v5, vcc_lo
	s_delay_alu instid0(VALU_DEP_3) | instskip(NEXT) | instid1(VALU_DEP_3)
	v_subrev_co_ci_u32_e64 v6, s1, 0, v6, s1
	v_cmp_le_u32_e32 vcc_lo, s14, v8
	v_cndmask_b32_e64 v8, 0, -1, vcc_lo
	s_delay_alu instid0(VALU_DEP_3)
	v_cmp_le_u32_e32 vcc_lo, s15, v6
	v_cndmask_b32_e64 v9, 0, -1, vcc_lo
	v_cmp_le_u32_e32 vcc_lo, s14, v4
	v_cndmask_b32_e64 v4, 0, -1, vcc_lo
	;; [unrolled: 2-line block ×3, first 2 shown]
	v_cmp_eq_u32_e32 vcc_lo, s15, v6
	v_cndmask_b32_e32 v6, v9, v8, vcc_lo
	v_add_co_u32 v8, vcc_lo, v2, 1
	v_cmp_eq_u32_e32 vcc_lo, s15, v5
	v_cndmask_b32_e32 v4, v10, v4, vcc_lo
	s_delay_alu instid0(VALU_DEP_4) | instskip(NEXT) | instid1(VALU_DEP_4)
	v_cmp_ne_u32_e32 vcc_lo, 0, v6
	v_cndmask_b32_e32 v5, v8, v7, vcc_lo
	s_delay_alu instid0(VALU_DEP_3) | instskip(SKIP_1) | instid1(VALU_DEP_3)
	v_cmp_ne_u32_e32 vcc_lo, 0, v4
	v_xor_b32_e32 v4, s2, v15
	v_cndmask_b32_e32 v2, v2, v5, vcc_lo
	s_delay_alu instid0(VALU_DEP_1) | instskip(NEXT) | instid1(VALU_DEP_1)
	v_xor_b32_e32 v2, v2, v4
	v_sub_co_u32 v6, vcc_lo, v2, v4
                                        ; implicit-def: $vgpr4_vgpr5
.LBB5_6:                                ;   in Loop: Header=BB5_3 Depth=1
	s_and_not1_saveexec_b32 s1, s16
; %bb.7:                                ;   in Loop: Header=BB5_3 Depth=1
	s_delay_alu instid0(VALU_DEP_3) | instskip(NEXT) | instid1(VALU_DEP_1)
	v_mul_hi_u32 v2, v4, v13
	v_mul_lo_u32 v5, v2, s20
	s_delay_alu instid0(VALU_DEP_1) | instskip(SKIP_1) | instid1(VALU_DEP_2)
	v_sub_nc_u32_e32 v4, v4, v5
	v_add_nc_u32_e32 v5, 1, v2
	v_subrev_nc_u32_e32 v6, s20, v4
	v_cmp_le_u32_e32 vcc_lo, s20, v4
	s_delay_alu instid0(VALU_DEP_2) | instskip(NEXT) | instid1(VALU_DEP_4)
	v_cndmask_b32_e32 v4, v4, v6, vcc_lo
	v_cndmask_b32_e32 v2, v2, v5, vcc_lo
	s_delay_alu instid0(VALU_DEP_2) | instskip(NEXT) | instid1(VALU_DEP_2)
	v_cmp_le_u32_e32 vcc_lo, s20, v4
	v_add_nc_u32_e32 v5, 1, v2
	s_delay_alu instid0(VALU_DEP_1)
	v_cndmask_b32_e32 v6, v2, v5, vcc_lo
; %bb.8:                                ;   in Loop: Header=BB5_3 Depth=1
	s_or_b32 exec_lo, exec_lo, s1
	v_sub_nc_u32_e32 v2, 0, v1
	s_mov_b32 s33, 0
	s_delay_alu instid0(VALU_DEP_1) | instskip(NEXT) | instid1(VALU_DEP_1)
	v_max_i32_e32 v2, v1, v2
	v_mul_hi_u32 v4, v2, v11
	s_delay_alu instid0(VALU_DEP_1) | instskip(NEXT) | instid1(VALU_DEP_1)
	v_mul_lo_u32 v5, v4, s21
	v_sub_nc_u32_e32 v2, v2, v5
	s_delay_alu instid0(VALU_DEP_1) | instskip(SKIP_1) | instid1(VALU_DEP_2)
	v_subrev_nc_u32_e32 v7, s21, v2
	v_cmp_le_u32_e32 vcc_lo, s21, v2
	v_dual_cndmask_b32 v2, v2, v7 :: v_dual_add_nc_u32 v5, 1, v4
	s_delay_alu instid0(VALU_DEP_1) | instskip(SKIP_1) | instid1(VALU_DEP_3)
	v_cndmask_b32_e32 v4, v4, v5, vcc_lo
	v_ashrrev_i32_e32 v5, 31, v1
	v_cmp_le_u32_e32 vcc_lo, s21, v2
	s_delay_alu instid0(VALU_DEP_3) | instskip(NEXT) | instid1(VALU_DEP_3)
	v_add_nc_u32_e32 v7, 1, v4
	v_xor_b32_e32 v5, s24, v5
	s_delay_alu instid0(VALU_DEP_2) | instskip(NEXT) | instid1(VALU_DEP_1)
	v_cndmask_b32_e32 v2, v4, v7, vcc_lo
	v_xor_b32_e32 v2, v2, v5
	s_delay_alu instid0(VALU_DEP_1) | instskip(NEXT) | instid1(VALU_DEP_1)
	v_sub_nc_u32_e32 v5, v2, v5
	v_mul_lo_u32 v2, v5, s6
	s_delay_alu instid0(VALU_DEP_1) | instskip(NEXT) | instid1(VALU_DEP_1)
	v_sub_nc_u32_e32 v2, v1, v2
	v_mul_lo_u32 v2, v2, s4
	s_delay_alu instid0(VALU_DEP_1) | instskip(NEXT) | instid1(VALU_DEP_1)
	v_sub_nc_u32_e32 v4, 0, v2
	v_max_i32_e32 v4, v2, v4
	v_ashrrev_i32_e32 v2, 31, v2
	s_delay_alu instid0(VALU_DEP_2) | instskip(NEXT) | instid1(VALU_DEP_2)
	v_mul_hi_u32 v7, v4, v11
	v_xor_b32_e32 v2, s24, v2
	s_delay_alu instid0(VALU_DEP_2) | instskip(NEXT) | instid1(VALU_DEP_1)
	v_mul_lo_u32 v8, v7, s21
	v_sub_nc_u32_e32 v4, v4, v8
	v_add_nc_u32_e32 v8, 1, v7
	s_delay_alu instid0(VALU_DEP_2) | instskip(SKIP_1) | instid1(VALU_DEP_2)
	v_subrev_nc_u32_e32 v9, s21, v4
	v_cmp_le_u32_e32 vcc_lo, s21, v4
	v_dual_cndmask_b32 v4, v4, v9 :: v_dual_cndmask_b32 v7, v7, v8
	s_delay_alu instid0(VALU_DEP_1) | instskip(NEXT) | instid1(VALU_DEP_2)
	v_cmp_le_u32_e32 vcc_lo, s21, v4
	v_add_nc_u32_e32 v8, 1, v7
	s_delay_alu instid0(VALU_DEP_1) | instskip(NEXT) | instid1(VALU_DEP_1)
	v_cndmask_b32_e32 v4, v7, v8, vcc_lo
	v_xor_b32_e32 v7, v4, v2
	v_mul_lo_u32 v4, v1, s7
	s_delay_alu instid0(VALU_DEP_2) | instskip(NEXT) | instid1(VALU_DEP_1)
	v_sub_nc_u32_e32 v2, v7, v2
	v_mad_u64_u32 v[7:8], null, v5, s4, v[2:3]
	s_delay_alu instid0(VALU_DEP_3) | instskip(NEXT) | instid1(VALU_DEP_1)
	v_ashrrev_i32_e32 v5, 31, v4
	v_lshlrev_b64 v[8:9], 2, v[4:5]
	s_delay_alu instid0(VALU_DEP_3) | instskip(SKIP_3) | instid1(VALU_DEP_4)
	v_sub_nc_u32_e32 v2, v6, v7
	v_ashrrev_i32_e32 v6, 31, v7
	v_mul_lo_u32 v10, s11, v7
	v_mad_u64_u32 v[4:5], null, s10, v7, s[8:9]
	v_add_nc_u32_e32 v7, 1, v2
	s_delay_alu instid0(VALU_DEP_4)
	v_mul_lo_u32 v6, s10, v6
	v_add_co_u32 v14, vcc_lo, s18, v8
	v_add_co_ci_u32_e32 v15, vcc_lo, s19, v9, vcc_lo
	v_cmp_gt_u32_e64 s1, 0x7fffffff, v2
	v_cvt_f32_i32_e32 v16, v7
	v_max_i32_e32 v17, 1, v7
	v_add3_u32 v5, v10, v5, v6
	v_mov_b32_e32 v2, v0
	s_branch .LBB5_11
.LBB5_9:                                ;   in Loop: Header=BB5_11 Depth=2
	s_set_inst_prefetch_distance 0x2
	s_or_b32 exec_lo, exec_lo, s15
.LBB5_10:                               ;   in Loop: Header=BB5_11 Depth=2
	s_delay_alu instid0(SALU_CYCLE_1) | instskip(SKIP_2) | instid1(VALU_DEP_2)
	s_or_b32 exec_lo, exec_lo, s14
	v_div_scale_f32 v6, null, v16, v16, v18
	v_div_scale_f32 v9, vcc_lo, v18, v16, v18
	v_rcp_f32_e32 v7, v6
	s_waitcnt_depctr 0xfff
	v_fma_f32 v8, -v6, v7, 1.0
	s_delay_alu instid0(VALU_DEP_1) | instskip(NEXT) | instid1(VALU_DEP_1)
	v_fmac_f32_e32 v7, v8, v7
	v_mul_f32_e32 v8, v9, v7
	s_delay_alu instid0(VALU_DEP_1) | instskip(NEXT) | instid1(VALU_DEP_1)
	v_fma_f32 v19, -v6, v8, v9
	v_fmac_f32_e32 v8, v19, v7
	s_delay_alu instid0(VALU_DEP_1) | instskip(NEXT) | instid1(VALU_DEP_1)
	v_fma_f32 v6, -v6, v8, v9
	v_div_fmas_f32 v6, v6, v7, v8
	v_cvt_f32_i32_e32 v8, v10
	s_delay_alu instid0(VALU_DEP_2) | instskip(NEXT) | instid1(VALU_DEP_1)
	v_div_fixup_f32 v9, v6, v16, v18
	v_div_scale_f32 v10, null, v8, v8, v9
	v_div_scale_f32 v19, vcc_lo, v9, v8, v9
	s_delay_alu instid0(VALU_DEP_2) | instskip(SKIP_2) | instid1(VALU_DEP_1)
	v_rcp_f32_e32 v18, v10
	s_waitcnt_depctr 0xfff
	v_fma_f32 v6, -v10, v18, 1.0
	v_fmac_f32_e32 v18, v6, v18
	s_delay_alu instid0(VALU_DEP_1) | instskip(NEXT) | instid1(VALU_DEP_1)
	v_mul_f32_e32 v20, v19, v18
	v_fma_f32 v6, -v10, v20, v19
	s_delay_alu instid0(VALU_DEP_1) | instskip(SKIP_2) | instid1(VALU_DEP_3)
	v_fmac_f32_e32 v20, v6, v18
	v_lshlrev_b64 v[6:7], 2, v[2:3]
	v_add_nc_u32_e32 v2, s23, v2
	v_fma_f32 v10, -v10, v20, v19
	s_delay_alu instid0(VALU_DEP_3) | instskip(NEXT) | instid1(VALU_DEP_1)
	v_add_co_u32 v6, s2, v14, v6
	v_add_co_ci_u32_e64 v7, s2, v15, v7, s2
	s_delay_alu instid0(VALU_DEP_3) | instskip(SKIP_1) | instid1(VALU_DEP_2)
	v_div_fmas_f32 v10, v10, v18, v20
	v_cmp_le_i32_e32 vcc_lo, s7, v2
	v_div_fixup_f32 v8, v10, v8, v9
	s_or_b32 s33, vcc_lo, s33
	global_store_b32 v[6:7], v8, off
	s_and_not1_b32 exec_lo, exec_lo, s33
	s_cbranch_execz .LBB5_2
.LBB5_11:                               ;   Parent Loop BB5_3 Depth=1
                                        ; =>  This Loop Header: Depth=2
                                        ;       Child Loop BB5_18 Depth 3
                                        ;         Child Loop BB5_20 Depth 4
	s_delay_alu instid0(VALU_DEP_1) | instskip(NEXT) | instid1(VALU_DEP_1)
	v_add_nc_u32_e32 v10, 1, v2
	v_mad_u64_u32 v[6:7], null, v10, s27, -1
	s_delay_alu instid0(VALU_DEP_1) | instskip(NEXT) | instid1(VALU_DEP_1)
	v_mad_u64_u32 v[8:9], null, v10, s25, v[7:8]
	v_dual_mov_b32 v7, v8 :: v_dual_mov_b32 v8, v3
	s_delay_alu instid0(VALU_DEP_1) | instskip(NEXT) | instid1(VALU_DEP_1)
	v_or_b32_e32 v9, s26, v7
	v_cmp_ne_u64_e32 vcc_lo, 0, v[8:9]
                                        ; implicit-def: $vgpr8_vgpr9
	s_and_saveexec_b32 s2, vcc_lo
	s_delay_alu instid0(SALU_CYCLE_1)
	s_xor_b32 s3, exec_lo, s2
	s_cbranch_execz .LBB5_13
; %bb.12:                               ;   in Loop: Header=BB5_11 Depth=2
	s_add_u32 s16, s28, s26
	s_mov_b32 s14, s26
	s_mov_b32 s15, s26
	s_addc_u32 s17, s26, s26
	s_delay_alu instid0(SALU_CYCLE_1) | instskip(NEXT) | instid1(SALU_CYCLE_1)
	s_xor_b64 s[16:17], s[16:17], s[14:15]
	v_cvt_f32_u32_e32 v8, s16
	v_cvt_f32_u32_e32 v9, s17
	s_sub_u32 s2, 0, s16
	s_subb_u32 s15, 0, s17
	s_delay_alu instid0(VALU_DEP_1) | instskip(NEXT) | instid1(VALU_DEP_1)
	v_fmac_f32_e32 v8, 0x4f800000, v9
	v_rcp_f32_e32 v8, v8
	s_waitcnt_depctr 0xfff
	v_mul_f32_e32 v8, 0x5f7ffffc, v8
	s_delay_alu instid0(VALU_DEP_1) | instskip(NEXT) | instid1(VALU_DEP_1)
	v_mul_f32_e32 v9, 0x2f800000, v8
	v_trunc_f32_e32 v9, v9
	s_delay_alu instid0(VALU_DEP_1) | instskip(SKIP_1) | instid1(VALU_DEP_2)
	v_fmac_f32_e32 v8, 0xcf800000, v9
	v_cvt_u32_f32_e32 v9, v9
	v_cvt_u32_f32_e32 v8, v8
	s_delay_alu instid0(VALU_DEP_2) | instskip(NEXT) | instid1(VALU_DEP_2)
	v_mul_lo_u32 v10, s2, v9
	v_mul_hi_u32 v18, s2, v8
	v_mul_lo_u32 v19, s15, v8
	s_delay_alu instid0(VALU_DEP_2) | instskip(SKIP_1) | instid1(VALU_DEP_2)
	v_add_nc_u32_e32 v10, v18, v10
	v_mul_lo_u32 v18, s2, v8
	v_add_nc_u32_e32 v10, v10, v19
	s_delay_alu instid0(VALU_DEP_2) | instskip(NEXT) | instid1(VALU_DEP_2)
	v_mul_hi_u32 v19, v8, v18
	v_mul_lo_u32 v20, v8, v10
	v_mul_hi_u32 v21, v8, v10
	v_mul_hi_u32 v22, v9, v18
	v_mul_lo_u32 v18, v9, v18
	v_mul_hi_u32 v23, v9, v10
	v_mul_lo_u32 v10, v9, v10
	v_add_co_u32 v19, vcc_lo, v19, v20
	v_add_co_ci_u32_e32 v20, vcc_lo, 0, v21, vcc_lo
	s_delay_alu instid0(VALU_DEP_2) | instskip(NEXT) | instid1(VALU_DEP_2)
	v_add_co_u32 v18, vcc_lo, v19, v18
	v_add_co_ci_u32_e32 v18, vcc_lo, v20, v22, vcc_lo
	v_add_co_ci_u32_e32 v19, vcc_lo, 0, v23, vcc_lo
	v_ashrrev_i32_e32 v22, 31, v7
	s_delay_alu instid0(VALU_DEP_3) | instskip(NEXT) | instid1(VALU_DEP_3)
	v_add_co_u32 v10, vcc_lo, v18, v10
	v_add_co_ci_u32_e32 v18, vcc_lo, 0, v19, vcc_lo
	s_delay_alu instid0(VALU_DEP_2) | instskip(NEXT) | instid1(VALU_DEP_2)
	v_add_co_u32 v8, vcc_lo, v8, v10
	v_add_co_ci_u32_e32 v9, vcc_lo, v9, v18, vcc_lo
	s_delay_alu instid0(VALU_DEP_2) | instskip(SKIP_1) | instid1(VALU_DEP_3)
	v_mul_hi_u32 v10, s2, v8
	v_mul_lo_u32 v19, s15, v8
	v_mul_lo_u32 v18, s2, v9
	s_delay_alu instid0(VALU_DEP_1) | instskip(SKIP_1) | instid1(VALU_DEP_2)
	v_add_nc_u32_e32 v10, v10, v18
	v_mul_lo_u32 v18, s2, v8
	v_add_nc_u32_e32 v10, v10, v19
	s_delay_alu instid0(VALU_DEP_2) | instskip(NEXT) | instid1(VALU_DEP_2)
	v_mul_hi_u32 v19, v8, v18
	v_mul_lo_u32 v20, v8, v10
	v_mul_hi_u32 v21, v8, v10
	v_mul_hi_u32 v23, v9, v18
	v_mul_lo_u32 v18, v9, v18
	v_mul_hi_u32 v24, v9, v10
	v_mul_lo_u32 v10, v9, v10
	v_add_co_u32 v19, vcc_lo, v19, v20
	v_add_co_ci_u32_e32 v20, vcc_lo, 0, v21, vcc_lo
	s_delay_alu instid0(VALU_DEP_2) | instskip(NEXT) | instid1(VALU_DEP_2)
	v_add_co_u32 v18, vcc_lo, v19, v18
	v_add_co_ci_u32_e32 v18, vcc_lo, v20, v23, vcc_lo
	v_add_co_ci_u32_e32 v19, vcc_lo, 0, v24, vcc_lo
	v_add_co_u32 v6, vcc_lo, v6, v22
	v_add_co_ci_u32_e32 v7, vcc_lo, v7, v22, vcc_lo
	s_delay_alu instid0(VALU_DEP_4) | instskip(NEXT) | instid1(VALU_DEP_4)
	v_add_co_u32 v10, vcc_lo, v18, v10
	v_add_co_ci_u32_e32 v18, vcc_lo, 0, v19, vcc_lo
	s_delay_alu instid0(VALU_DEP_4) | instskip(NEXT) | instid1(VALU_DEP_3)
	v_xor_b32_e32 v20, v6, v22
	v_add_co_u32 v10, vcc_lo, v8, v10
	s_delay_alu instid0(VALU_DEP_3) | instskip(SKIP_1) | instid1(VALU_DEP_3)
	v_add_co_ci_u32_e32 v21, vcc_lo, v9, v18, vcc_lo
	v_xor_b32_e32 v23, v7, v22
	v_mul_hi_u32 v24, v20, v10
	s_delay_alu instid0(VALU_DEP_3) | instskip(NEXT) | instid1(VALU_DEP_3)
	v_mad_u64_u32 v[6:7], null, v20, v21, 0
	v_mad_u64_u32 v[8:9], null, v23, v10, 0
	;; [unrolled: 1-line block ×3, first 2 shown]
	s_delay_alu instid0(VALU_DEP_3) | instskip(NEXT) | instid1(VALU_DEP_4)
	v_add_co_u32 v6, vcc_lo, v24, v6
	v_add_co_ci_u32_e32 v7, vcc_lo, 0, v7, vcc_lo
	s_delay_alu instid0(VALU_DEP_2) | instskip(NEXT) | instid1(VALU_DEP_2)
	v_add_co_u32 v6, vcc_lo, v6, v8
	v_add_co_ci_u32_e32 v6, vcc_lo, v7, v9, vcc_lo
	v_add_co_ci_u32_e32 v7, vcc_lo, 0, v19, vcc_lo
	s_delay_alu instid0(VALU_DEP_2) | instskip(NEXT) | instid1(VALU_DEP_2)
	v_add_co_u32 v8, vcc_lo, v6, v18
	v_add_co_ci_u32_e32 v9, vcc_lo, 0, v7, vcc_lo
	s_delay_alu instid0(VALU_DEP_2) | instskip(SKIP_1) | instid1(VALU_DEP_3)
	v_mul_lo_u32 v10, s17, v8
	v_mad_u64_u32 v[6:7], null, s16, v8, 0
	v_mul_lo_u32 v9, s16, v9
	s_delay_alu instid0(VALU_DEP_2) | instskip(NEXT) | instid1(VALU_DEP_2)
	v_sub_co_u32 v6, vcc_lo, v20, v6
	v_add3_u32 v7, v7, v9, v10
	v_add_co_u32 v10, s2, v8, 2
	s_delay_alu instid0(VALU_DEP_2) | instskip(NEXT) | instid1(VALU_DEP_1)
	v_sub_nc_u32_e32 v9, v23, v7
	v_subrev_co_ci_u32_e64 v9, s2, s17, v9, vcc_lo
	v_sub_co_u32 v18, s2, v6, s16
	v_sub_co_ci_u32_e32 v7, vcc_lo, v23, v7, vcc_lo
	s_delay_alu instid0(VALU_DEP_3) | instskip(NEXT) | instid1(VALU_DEP_3)
	v_subrev_co_ci_u32_e64 v9, s2, 0, v9, s2
	v_cmp_le_u32_e32 vcc_lo, s16, v18
	v_cndmask_b32_e64 v18, 0, -1, vcc_lo
	s_delay_alu instid0(VALU_DEP_3)
	v_cmp_le_u32_e32 vcc_lo, s17, v9
	v_cndmask_b32_e64 v19, 0, -1, vcc_lo
	v_cmp_le_u32_e32 vcc_lo, s16, v6
	v_cndmask_b32_e64 v6, 0, -1, vcc_lo
	;; [unrolled: 2-line block ×3, first 2 shown]
	v_cmp_eq_u32_e32 vcc_lo, s17, v9
	v_cndmask_b32_e32 v9, v19, v18, vcc_lo
	v_add_co_u32 v18, vcc_lo, v8, 1
	v_cmp_eq_u32_e32 vcc_lo, s17, v7
	v_cndmask_b32_e32 v6, v20, v6, vcc_lo
	s_delay_alu instid0(VALU_DEP_4) | instskip(NEXT) | instid1(VALU_DEP_4)
	v_cmp_ne_u32_e32 vcc_lo, 0, v9
	v_cndmask_b32_e32 v7, v18, v10, vcc_lo
	s_delay_alu instid0(VALU_DEP_3) | instskip(NEXT) | instid1(VALU_DEP_2)
	v_cmp_ne_u32_e32 vcc_lo, 0, v6
	v_cndmask_b32_e32 v6, v8, v7, vcc_lo
	v_xor_b32_e32 v7, s14, v22
	s_delay_alu instid0(VALU_DEP_1) | instskip(NEXT) | instid1(VALU_DEP_1)
	v_xor_b32_e32 v6, v6, v7
	v_sub_co_u32 v8, vcc_lo, v6, v7
                                        ; implicit-def: $vgpr6_vgpr7
.LBB5_13:                               ;   in Loop: Header=BB5_11 Depth=2
	s_and_not1_saveexec_b32 s2, s3
	s_cbranch_execz .LBB5_15
; %bb.14:                               ;   in Loop: Header=BB5_11 Depth=2
	v_cvt_f32_u32_e32 v7, s28
	s_sub_i32 s3, 0, s28
	s_delay_alu instid0(VALU_DEP_1) | instskip(SKIP_2) | instid1(VALU_DEP_1)
	v_rcp_iflag_f32_e32 v7, v7
	s_waitcnt_depctr 0xfff
	v_mul_f32_e32 v7, 0x4f7ffffe, v7
	v_cvt_u32_f32_e32 v7, v7
	s_delay_alu instid0(VALU_DEP_1) | instskip(NEXT) | instid1(VALU_DEP_1)
	v_mul_lo_u32 v8, s3, v7
	v_mul_hi_u32 v8, v7, v8
	s_delay_alu instid0(VALU_DEP_1) | instskip(NEXT) | instid1(VALU_DEP_1)
	v_add_nc_u32_e32 v7, v7, v8
	v_mul_hi_u32 v7, v6, v7
	s_delay_alu instid0(VALU_DEP_1) | instskip(NEXT) | instid1(VALU_DEP_1)
	v_mul_lo_u32 v8, v7, s28
	v_sub_nc_u32_e32 v6, v6, v8
	v_add_nc_u32_e32 v8, 1, v7
	s_delay_alu instid0(VALU_DEP_2) | instskip(SKIP_1) | instid1(VALU_DEP_2)
	v_subrev_nc_u32_e32 v9, s28, v6
	v_cmp_le_u32_e32 vcc_lo, s28, v6
	v_dual_cndmask_b32 v6, v6, v9 :: v_dual_cndmask_b32 v7, v7, v8
	s_delay_alu instid0(VALU_DEP_1) | instskip(NEXT) | instid1(VALU_DEP_2)
	v_cmp_le_u32_e32 vcc_lo, s28, v6
	v_add_nc_u32_e32 v8, 1, v7
	s_delay_alu instid0(VALU_DEP_1)
	v_cndmask_b32_e32 v8, v7, v8, vcc_lo
.LBB5_15:                               ;   in Loop: Header=BB5_11 Depth=2
	s_or_b32 exec_lo, exec_lo, s2
	v_mul_lo_u32 v6, v2, s5
	v_mul_hi_u32 v9, v2, v12
	s_delay_alu instid0(VALU_DEP_2) | instskip(NEXT) | instid1(VALU_DEP_2)
	v_sub_nc_u32_e32 v7, 0, v6
	v_mul_lo_u32 v18, v9, s22
	v_add_nc_u32_e32 v20, 1, v9
	s_delay_alu instid0(VALU_DEP_3) | instskip(SKIP_1) | instid1(VALU_DEP_4)
	v_max_i32_e32 v7, v6, v7
	v_ashrrev_i32_e32 v6, 31, v6
	v_sub_nc_u32_e32 v18, v2, v18
	s_delay_alu instid0(VALU_DEP_3) | instskip(NEXT) | instid1(VALU_DEP_3)
	v_mul_hi_u32 v10, v7, v12
	v_xor_b32_e32 v6, s26, v6
	s_delay_alu instid0(VALU_DEP_3) | instskip(NEXT) | instid1(VALU_DEP_3)
	v_cmp_le_u32_e32 vcc_lo, s22, v18
	v_mul_lo_u32 v19, v10, s22
	v_cndmask_b32_e32 v9, v9, v20, vcc_lo
	v_subrev_nc_u32_e32 v20, s22, v18
	s_delay_alu instid0(VALU_DEP_1) | instskip(NEXT) | instid1(VALU_DEP_4)
	v_cndmask_b32_e32 v18, v18, v20, vcc_lo
	v_sub_nc_u32_e32 v7, v7, v19
	v_add_nc_u32_e32 v19, 1, v10
	s_delay_alu instid0(VALU_DEP_3) | instskip(NEXT) | instid1(VALU_DEP_3)
	v_cmp_le_u32_e32 vcc_lo, s22, v18
	v_cmp_le_u32_e64 s2, s22, v7
	v_subrev_nc_u32_e32 v21, s22, v7
	s_delay_alu instid0(VALU_DEP_2) | instskip(NEXT) | instid1(VALU_DEP_2)
	v_cndmask_b32_e64 v10, v10, v19, s2
	v_cndmask_b32_e64 v7, v7, v21, s2
	s_delay_alu instid0(VALU_DEP_2) | instskip(SKIP_1) | instid1(VALU_DEP_1)
	v_add_nc_u32_e32 v20, 1, v10
	v_add_nc_u32_e32 v19, 1, v9
	v_cndmask_b32_e32 v9, v9, v19, vcc_lo
	s_delay_alu instid0(VALU_DEP_4) | instskip(NEXT) | instid1(VALU_DEP_2)
	v_cmp_le_u32_e32 vcc_lo, s22, v7
	v_xor_b32_e32 v9, s26, v9
	v_cndmask_b32_e32 v7, v10, v20, vcc_lo
	s_delay_alu instid0(VALU_DEP_2) | instskip(NEXT) | instid1(VALU_DEP_2)
	v_subrev_nc_u32_e32 v18, s26, v9
	v_xor_b32_e32 v7, v7, v6
	s_delay_alu instid0(VALU_DEP_1) | instskip(NEXT) | instid1(VALU_DEP_1)
	v_sub_nc_u32_e32 v6, v7, v6
	v_mad_u64_u32 v[9:10], null, v18, s5, v[6:7]
	v_mov_b32_e32 v18, 0
	s_delay_alu instid0(VALU_DEP_2) | instskip(NEXT) | instid1(VALU_DEP_1)
	v_sub_nc_u32_e32 v8, v8, v9
	v_add_nc_u32_e32 v10, 1, v8
	s_and_saveexec_b32 s14, s1
	s_cbranch_execz .LBB5_10
; %bb.16:                               ;   in Loop: Header=BB5_11 Depth=2
	v_ashrrev_i32_e32 v18, 31, v9
	v_mad_u64_u32 v[6:7], null, s12, v9, v[4:5]
	v_mul_lo_u32 v9, s13, v9
	v_cmp_gt_u32_e32 vcc_lo, 0x7fffffff, v8
	s_delay_alu instid0(VALU_DEP_4) | instskip(SKIP_3) | instid1(VALU_DEP_2)
	v_mul_lo_u32 v18, s12, v18
	v_max_i32_e32 v19, 1, v10
	s_mov_b32 s15, 0
	s_mov_b32 s16, 0
	v_add3_u32 v7, v9, v7, v18
	v_mov_b32_e32 v18, 0
	s_set_inst_prefetch_distance 0x1
	s_branch .LBB5_18
	.p2align	6
.LBB5_17:                               ;   in Loop: Header=BB5_18 Depth=3
	s_or_b32 exec_lo, exec_lo, s17
	s_add_i32 s16, s16, 1
	v_add_co_u32 v6, s3, v6, s10
	v_cmp_eq_u32_e64 s2, s16, v17
	v_add_co_ci_u32_e64 v7, s3, s11, v7, s3
	s_delay_alu instid0(VALU_DEP_2) | instskip(NEXT) | instid1(SALU_CYCLE_1)
	s_or_b32 s15, s2, s15
	s_and_not1_b32 exec_lo, exec_lo, s15
	s_cbranch_execz .LBB5_9
.LBB5_18:                               ;   Parent Loop BB5_3 Depth=1
                                        ;     Parent Loop BB5_11 Depth=2
                                        ; =>    This Loop Header: Depth=3
                                        ;         Child Loop BB5_20 Depth 4
	s_and_saveexec_b32 s17, vcc_lo
	s_cbranch_execz .LBB5_17
; %bb.19:                               ;   in Loop: Header=BB5_18 Depth=3
	v_dual_mov_b32 v9, v7 :: v_dual_mov_b32 v8, v6
	v_mov_b32_e32 v20, v19
	s_mov_b32 s34, 0
.LBB5_20:                               ;   Parent Loop BB5_3 Depth=1
                                        ;     Parent Loop BB5_11 Depth=2
                                        ;       Parent Loop BB5_18 Depth=3
                                        ; =>      This Inner Loop Header: Depth=4
	global_load_b32 v21, v[8:9], off
	v_add_nc_u32_e32 v20, -1, v20
	v_add_co_u32 v8, s2, v8, s12
	s_delay_alu instid0(VALU_DEP_1) | instskip(NEXT) | instid1(VALU_DEP_3)
	v_add_co_ci_u32_e64 v9, s2, s13, v9, s2
	v_cmp_eq_u32_e64 s3, 0, v20
	s_delay_alu instid0(VALU_DEP_1)
	s_or_b32 s34, s3, s34
	s_waitcnt vmcnt(0)
	v_add_f32_e32 v18, v18, v21
	s_and_not1_b32 exec_lo, exec_lo, s34
	s_cbranch_execnz .LBB5_20
; %bb.21:                               ;   in Loop: Header=BB5_18 Depth=3
	s_or_b32 exec_lo, exec_lo, s34
	s_branch .LBB5_17
.LBB5_22:
	s_nop 0
	s_sendmsg sendmsg(MSG_DEALLOC_VGPRS)
	s_endpgm
	.section	.rodata,"a",@progbits
	.p2align	6, 0x0
	.amdhsa_kernel _ZN2at6native12_GLOBAL__N_121adaptive_average_poolIfEEvPKT_PS3_iiiilll
		.amdhsa_group_segment_fixed_size 0
		.amdhsa_private_segment_fixed_size 0
		.amdhsa_kernarg_size 312
		.amdhsa_user_sgpr_count 14
		.amdhsa_user_sgpr_dispatch_ptr 0
		.amdhsa_user_sgpr_queue_ptr 0
		.amdhsa_user_sgpr_kernarg_segment_ptr 1
		.amdhsa_user_sgpr_dispatch_id 0
		.amdhsa_user_sgpr_private_segment_size 0
		.amdhsa_wavefront_size32 1
		.amdhsa_uses_dynamic_stack 0
		.amdhsa_enable_private_segment 0
		.amdhsa_system_sgpr_workgroup_id_x 1
		.amdhsa_system_sgpr_workgroup_id_y 1
		.amdhsa_system_sgpr_workgroup_id_z 0
		.amdhsa_system_sgpr_workgroup_info 0
		.amdhsa_system_vgpr_workitem_id 1
		.amdhsa_next_free_vgpr 25
		.amdhsa_next_free_sgpr 36
		.amdhsa_reserve_vcc 1
		.amdhsa_float_round_mode_32 0
		.amdhsa_float_round_mode_16_64 0
		.amdhsa_float_denorm_mode_32 3
		.amdhsa_float_denorm_mode_16_64 3
		.amdhsa_dx10_clamp 1
		.amdhsa_ieee_mode 1
		.amdhsa_fp16_overflow 0
		.amdhsa_workgroup_processor_mode 1
		.amdhsa_memory_ordered 1
		.amdhsa_forward_progress 0
		.amdhsa_shared_vgpr_count 0
		.amdhsa_exception_fp_ieee_invalid_op 0
		.amdhsa_exception_fp_denorm_src 0
		.amdhsa_exception_fp_ieee_div_zero 0
		.amdhsa_exception_fp_ieee_overflow 0
		.amdhsa_exception_fp_ieee_underflow 0
		.amdhsa_exception_fp_ieee_inexact 0
		.amdhsa_exception_int_div_zero 0
	.end_amdhsa_kernel
	.section	.text._ZN2at6native12_GLOBAL__N_121adaptive_average_poolIfEEvPKT_PS3_iiiilll,"axG",@progbits,_ZN2at6native12_GLOBAL__N_121adaptive_average_poolIfEEvPKT_PS3_iiiilll,comdat
.Lfunc_end5:
	.size	_ZN2at6native12_GLOBAL__N_121adaptive_average_poolIfEEvPKT_PS3_iiiilll, .Lfunc_end5-_ZN2at6native12_GLOBAL__N_121adaptive_average_poolIfEEvPKT_PS3_iiiilll
                                        ; -- End function
	.section	.AMDGPU.csdata,"",@progbits
; Kernel info:
; codeLenInByte = 3412
; NumSgprs: 38
; NumVgprs: 25
; ScratchSize: 0
; MemoryBound: 0
; FloatMode: 240
; IeeeMode: 1
; LDSByteSize: 0 bytes/workgroup (compile time only)
; SGPRBlocks: 4
; VGPRBlocks: 3
; NumSGPRsForWavesPerEU: 38
; NumVGPRsForWavesPerEU: 25
; Occupancy: 16
; WaveLimiterHint : 0
; COMPUTE_PGM_RSRC2:SCRATCH_EN: 0
; COMPUTE_PGM_RSRC2:USER_SGPR: 14
; COMPUTE_PGM_RSRC2:TRAP_HANDLER: 0
; COMPUTE_PGM_RSRC2:TGID_X_EN: 1
; COMPUTE_PGM_RSRC2:TGID_Y_EN: 1
; COMPUTE_PGM_RSRC2:TGID_Z_EN: 0
; COMPUTE_PGM_RSRC2:TIDIG_COMP_CNT: 1
	.section	.text._ZN2at6native12_GLOBAL__N_121adaptive_average_poolIN3c104HalfEEEvPKT_PS5_iiiilll,"axG",@progbits,_ZN2at6native12_GLOBAL__N_121adaptive_average_poolIN3c104HalfEEEvPKT_PS5_iiiilll,comdat
	.globl	_ZN2at6native12_GLOBAL__N_121adaptive_average_poolIN3c104HalfEEEvPKT_PS5_iiiilll ; -- Begin function _ZN2at6native12_GLOBAL__N_121adaptive_average_poolIN3c104HalfEEEvPKT_PS5_iiiilll
	.p2align	8
	.type	_ZN2at6native12_GLOBAL__N_121adaptive_average_poolIN3c104HalfEEEvPKT_PS5_iiiilll,@function
_ZN2at6native12_GLOBAL__N_121adaptive_average_poolIN3c104HalfEEEvPKT_PS5_iiiilll: ; @_ZN2at6native12_GLOBAL__N_121adaptive_average_poolIN3c104HalfEEEvPKT_PS5_iiiilll
; %bb.0:
	s_clause 0x1
	s_load_b32 s13, s[0:1], 0x44
	s_load_b128 s[4:7], s[0:1], 0x10
	v_bfe_u32 v3, v0, 10, 10
	s_add_u32 s2, s0, 56
	s_addc_u32 s3, s1, 0
	s_mov_b32 s8, exec_lo
	s_waitcnt lgkmcnt(0)
	s_lshr_b32 s12, s13, 16
	s_delay_alu instid0(SALU_CYCLE_1) | instskip(NEXT) | instid1(VALU_DEP_1)
	v_mad_u64_u32 v[1:2], null, s15, s12, v[3:4]
	v_cmpx_gt_i32_e64 s6, v1
	s_cbranch_execz .LBB6_22
; %bb.1:
	s_clause 0x1
	s_load_b128 s[16:19], s[0:1], 0x0
	s_load_b128 s[8:11], s[0:1], 0x20
	s_mul_i32 s15, s14, s6
	s_load_b64 s[34:35], s[0:1], 0x30
	s_mul_i32 s22, s15, s7
	s_mov_b32 s20, s6
	s_ashr_i32 s23, s22, 31
	v_cvt_f32_u32_e32 v2, s20
	s_lshl_b64 s[0:1], s[22:23], 1
	s_load_b32 s29, s[2:3], 0x4
	v_and_b32_e32 v0, 0x3ff, v0
	s_mov_b32 s27, s5
	v_rcp_iflag_f32_e32 v2, v2
	s_mov_b32 s28, s7
	s_mov_b32 s30, 0
	s_waitcnt lgkmcnt(0)
	s_add_u32 s18, s18, s0
	s_addc_u32 s19, s19, s1
	s_abs_i32 s21, s6
	s_abs_i32 s22, s7
	v_cvt_f32_u32_e32 v3, s21
	v_cvt_f32_u32_e32 v4, s22
	s_and_b32 s23, s13, 0xffff
	s_sub_i32 s13, 0, s21
	s_ashr_i32 s3, s14, 31
	v_rcp_iflag_f32_e32 v3, v3
	s_waitcnt_depctr 0xfff
	v_mul_f32_e32 v2, 0x4f7ffffe, v2
	v_rcp_iflag_f32_e32 v4, v4
	s_mul_hi_u32 s2, s8, s14
	s_mul_i32 s3, s8, s3
	s_mul_i32 s1, s9, s14
	s_add_i32 s2, s2, s3
	s_mul_i32 s0, s8, s14
	s_add_i32 s1, s2, s1
	s_ashr_i32 s24, s6, 31
	v_mul_f32_e32 v3, 0x4f7ffffe, v3
	v_cvt_u32_f32_e32 v2, v2
	s_waitcnt_depctr 0xfff
	v_mul_f32_e32 v4, 0x4f7ffffe, v4
	s_lshl_b64 s[0:1], s[0:1], 1
	s_ashr_i32 s25, s5, 31
	v_cvt_u32_f32_e32 v5, v3
	s_ashr_i32 s26, s7, 31
	s_sub_i32 s2, 0, s22
	s_add_u32 s8, s16, s0
	s_addc_u32 s9, s17, s1
	v_mul_lo_u32 v3, s13, v5
	s_sub_i32 s0, 0, s6
	s_mul_i32 s29, s29, s12
	v_mul_lo_u32 v7, s0, v2
	v_cmp_gt_i32_e64 s0, s7, v0
	s_lshl_b64 s[10:11], s[10:11], 1
	s_lshl_b64 s[12:13], s[34:35], 1
	s_delay_alu instid0(VALU_DEP_3) | instskip(SKIP_3) | instid1(VALU_DEP_2)
	v_mul_hi_u32 v8, v5, v3
	v_mov_b32_e32 v3, 0
	v_cvt_u32_f32_e32 v4, v4
	v_mul_hi_u32 v7, v2, v7
	v_mul_lo_u32 v6, s2, v4
	v_add_nc_u32_e32 v11, v5, v8
	s_delay_alu instid0(VALU_DEP_3) | instskip(NEXT) | instid1(VALU_DEP_3)
	v_add_nc_u32_e32 v13, v2, v7
	v_mul_hi_u32 v6, v4, v6
	s_delay_alu instid0(VALU_DEP_1)
	v_add_nc_u32_e32 v12, v4, v6
	s_branch .LBB6_3
.LBB6_2:                                ;   in Loop: Header=BB6_3 Depth=1
	s_or_b32 exec_lo, exec_lo, s31
	v_add_nc_u32_e32 v1, s29, v1
	s_delay_alu instid0(VALU_DEP_1) | instskip(SKIP_1) | instid1(SALU_CYCLE_1)
	v_cmp_le_i32_e32 vcc_lo, s6, v1
	s_or_b32 s30, vcc_lo, s30
	s_and_not1_b32 exec_lo, exec_lo, s30
	s_cbranch_execz .LBB6_22
.LBB6_3:                                ; =>This Loop Header: Depth=1
                                        ;     Child Loop BB6_11 Depth 2
                                        ;       Child Loop BB6_18 Depth 3
                                        ;         Child Loop BB6_20 Depth 4
	s_and_saveexec_b32 s31, s0
	s_cbranch_execz .LBB6_2
; %bb.4:                                ;   in Loop: Header=BB6_3 Depth=1
	v_add_nc_u32_e32 v2, 1, v1
	v_mov_b32_e32 v6, v3
	s_delay_alu instid0(VALU_DEP_2) | instskip(NEXT) | instid1(VALU_DEP_1)
	v_mad_i64_i32 v[4:5], null, v2, s4, -1
	v_or_b32_e32 v7, s24, v5
	s_delay_alu instid0(VALU_DEP_1) | instskip(SKIP_1) | instid1(SALU_CYCLE_1)
	v_cmp_ne_u64_e32 vcc_lo, 0, v[6:7]
                                        ; implicit-def: $vgpr6_vgpr7
	s_and_saveexec_b32 s1, vcc_lo
	s_xor_b32 s16, exec_lo, s1
	s_cbranch_execz .LBB6_6
; %bb.5:                                ;   in Loop: Header=BB6_3 Depth=1
	s_add_u32 s14, s20, s24
	s_mov_b32 s2, s24
	s_mov_b32 s3, s24
	s_addc_u32 s15, s24, s24
	s_delay_alu instid0(SALU_CYCLE_1) | instskip(NEXT) | instid1(SALU_CYCLE_1)
	s_xor_b64 s[14:15], s[14:15], s[2:3]
	v_cvt_f32_u32_e32 v2, s14
	v_cvt_f32_u32_e32 v6, s15
	s_sub_u32 s1, 0, s14
	s_subb_u32 s3, 0, s15
	s_delay_alu instid0(VALU_DEP_1) | instskip(NEXT) | instid1(VALU_DEP_1)
	v_fmac_f32_e32 v2, 0x4f800000, v6
	v_rcp_f32_e32 v2, v2
	s_waitcnt_depctr 0xfff
	v_mul_f32_e32 v2, 0x5f7ffffc, v2
	s_delay_alu instid0(VALU_DEP_1) | instskip(NEXT) | instid1(VALU_DEP_1)
	v_mul_f32_e32 v6, 0x2f800000, v2
	v_trunc_f32_e32 v6, v6
	s_delay_alu instid0(VALU_DEP_1) | instskip(SKIP_1) | instid1(VALU_DEP_2)
	v_fmac_f32_e32 v2, 0xcf800000, v6
	v_cvt_u32_f32_e32 v6, v6
	v_cvt_u32_f32_e32 v2, v2
	s_delay_alu instid0(VALU_DEP_2) | instskip(NEXT) | instid1(VALU_DEP_2)
	v_mul_lo_u32 v7, s1, v6
	v_mul_hi_u32 v8, s1, v2
	v_mul_lo_u32 v9, s3, v2
	s_delay_alu instid0(VALU_DEP_2) | instskip(SKIP_1) | instid1(VALU_DEP_2)
	v_add_nc_u32_e32 v7, v8, v7
	v_mul_lo_u32 v8, s1, v2
	v_add_nc_u32_e32 v7, v7, v9
	s_delay_alu instid0(VALU_DEP_2) | instskip(NEXT) | instid1(VALU_DEP_2)
	v_mul_hi_u32 v9, v2, v8
	v_mul_lo_u32 v10, v2, v7
	v_mul_hi_u32 v14, v2, v7
	v_mul_hi_u32 v15, v6, v8
	v_mul_lo_u32 v8, v6, v8
	v_mul_hi_u32 v16, v6, v7
	v_mul_lo_u32 v7, v6, v7
	v_add_co_u32 v9, vcc_lo, v9, v10
	v_add_co_ci_u32_e32 v10, vcc_lo, 0, v14, vcc_lo
	s_delay_alu instid0(VALU_DEP_2) | instskip(NEXT) | instid1(VALU_DEP_2)
	v_add_co_u32 v8, vcc_lo, v9, v8
	v_add_co_ci_u32_e32 v8, vcc_lo, v10, v15, vcc_lo
	v_add_co_ci_u32_e32 v9, vcc_lo, 0, v16, vcc_lo
	v_ashrrev_i32_e32 v15, 31, v5
	s_delay_alu instid0(VALU_DEP_3) | instskip(NEXT) | instid1(VALU_DEP_3)
	v_add_co_u32 v7, vcc_lo, v8, v7
	v_add_co_ci_u32_e32 v8, vcc_lo, 0, v9, vcc_lo
	s_delay_alu instid0(VALU_DEP_2) | instskip(NEXT) | instid1(VALU_DEP_2)
	v_add_co_u32 v2, vcc_lo, v2, v7
	v_add_co_ci_u32_e32 v6, vcc_lo, v6, v8, vcc_lo
	s_delay_alu instid0(VALU_DEP_2) | instskip(SKIP_1) | instid1(VALU_DEP_3)
	v_mul_hi_u32 v7, s1, v2
	v_mul_lo_u32 v9, s3, v2
	v_mul_lo_u32 v8, s1, v6
	s_delay_alu instid0(VALU_DEP_1) | instskip(SKIP_1) | instid1(VALU_DEP_2)
	v_add_nc_u32_e32 v7, v7, v8
	v_mul_lo_u32 v8, s1, v2
	v_add_nc_u32_e32 v7, v7, v9
	s_delay_alu instid0(VALU_DEP_2) | instskip(NEXT) | instid1(VALU_DEP_2)
	v_mul_hi_u32 v9, v2, v8
	v_mul_lo_u32 v10, v2, v7
	v_mul_hi_u32 v14, v2, v7
	v_mul_hi_u32 v16, v6, v8
	v_mul_lo_u32 v8, v6, v8
	v_mul_hi_u32 v17, v6, v7
	v_mul_lo_u32 v7, v6, v7
	v_add_co_u32 v9, vcc_lo, v9, v10
	v_add_co_ci_u32_e32 v10, vcc_lo, 0, v14, vcc_lo
	s_delay_alu instid0(VALU_DEP_2) | instskip(NEXT) | instid1(VALU_DEP_2)
	v_add_co_u32 v8, vcc_lo, v9, v8
	v_add_co_ci_u32_e32 v8, vcc_lo, v10, v16, vcc_lo
	v_add_co_ci_u32_e32 v9, vcc_lo, 0, v17, vcc_lo
	v_add_co_u32 v4, vcc_lo, v4, v15
	v_add_co_ci_u32_e32 v5, vcc_lo, v5, v15, vcc_lo
	s_delay_alu instid0(VALU_DEP_4) | instskip(NEXT) | instid1(VALU_DEP_4)
	v_add_co_u32 v7, vcc_lo, v8, v7
	v_add_co_ci_u32_e32 v8, vcc_lo, 0, v9, vcc_lo
	s_delay_alu instid0(VALU_DEP_4) | instskip(NEXT) | instid1(VALU_DEP_3)
	v_xor_b32_e32 v10, v4, v15
	v_add_co_u32 v2, vcc_lo, v2, v7
	s_delay_alu instid0(VALU_DEP_3) | instskip(SKIP_1) | instid1(VALU_DEP_3)
	v_add_co_ci_u32_e32 v14, vcc_lo, v6, v8, vcc_lo
	v_xor_b32_e32 v16, v5, v15
	v_mul_hi_u32 v17, v10, v2
	s_delay_alu instid0(VALU_DEP_3) | instskip(NEXT) | instid1(VALU_DEP_3)
	v_mad_u64_u32 v[4:5], null, v10, v14, 0
	v_mad_u64_u32 v[6:7], null, v16, v2, 0
	;; [unrolled: 1-line block ×3, first 2 shown]
	s_delay_alu instid0(VALU_DEP_3) | instskip(NEXT) | instid1(VALU_DEP_4)
	v_add_co_u32 v2, vcc_lo, v17, v4
	v_add_co_ci_u32_e32 v4, vcc_lo, 0, v5, vcc_lo
	s_delay_alu instid0(VALU_DEP_2) | instskip(NEXT) | instid1(VALU_DEP_2)
	v_add_co_u32 v2, vcc_lo, v2, v6
	v_add_co_ci_u32_e32 v2, vcc_lo, v4, v7, vcc_lo
	v_add_co_ci_u32_e32 v4, vcc_lo, 0, v9, vcc_lo
	s_delay_alu instid0(VALU_DEP_2) | instskip(NEXT) | instid1(VALU_DEP_2)
	v_add_co_u32 v2, vcc_lo, v2, v8
	v_add_co_ci_u32_e32 v6, vcc_lo, 0, v4, vcc_lo
	s_delay_alu instid0(VALU_DEP_2) | instskip(SKIP_1) | instid1(VALU_DEP_3)
	v_mul_lo_u32 v7, s15, v2
	v_mad_u64_u32 v[4:5], null, s14, v2, 0
	v_mul_lo_u32 v6, s14, v6
	s_delay_alu instid0(VALU_DEP_2) | instskip(NEXT) | instid1(VALU_DEP_2)
	v_sub_co_u32 v4, vcc_lo, v10, v4
	v_add3_u32 v5, v5, v6, v7
	v_add_co_u32 v7, s1, v2, 2
	s_delay_alu instid0(VALU_DEP_2) | instskip(NEXT) | instid1(VALU_DEP_1)
	v_sub_nc_u32_e32 v6, v16, v5
	v_subrev_co_ci_u32_e64 v6, s1, s15, v6, vcc_lo
	v_sub_co_u32 v8, s1, v4, s14
	v_sub_co_ci_u32_e32 v5, vcc_lo, v16, v5, vcc_lo
	s_delay_alu instid0(VALU_DEP_3) | instskip(NEXT) | instid1(VALU_DEP_3)
	v_subrev_co_ci_u32_e64 v6, s1, 0, v6, s1
	v_cmp_le_u32_e32 vcc_lo, s14, v8
	v_cndmask_b32_e64 v8, 0, -1, vcc_lo
	s_delay_alu instid0(VALU_DEP_3)
	v_cmp_le_u32_e32 vcc_lo, s15, v6
	v_cndmask_b32_e64 v9, 0, -1, vcc_lo
	v_cmp_le_u32_e32 vcc_lo, s14, v4
	v_cndmask_b32_e64 v4, 0, -1, vcc_lo
	;; [unrolled: 2-line block ×3, first 2 shown]
	v_cmp_eq_u32_e32 vcc_lo, s15, v6
	v_cndmask_b32_e32 v6, v9, v8, vcc_lo
	v_add_co_u32 v8, vcc_lo, v2, 1
	v_cmp_eq_u32_e32 vcc_lo, s15, v5
	v_cndmask_b32_e32 v4, v10, v4, vcc_lo
	s_delay_alu instid0(VALU_DEP_4) | instskip(NEXT) | instid1(VALU_DEP_4)
	v_cmp_ne_u32_e32 vcc_lo, 0, v6
	v_cndmask_b32_e32 v5, v8, v7, vcc_lo
	s_delay_alu instid0(VALU_DEP_3) | instskip(SKIP_1) | instid1(VALU_DEP_3)
	v_cmp_ne_u32_e32 vcc_lo, 0, v4
	v_xor_b32_e32 v4, s2, v15
	v_cndmask_b32_e32 v2, v2, v5, vcc_lo
	s_delay_alu instid0(VALU_DEP_1) | instskip(NEXT) | instid1(VALU_DEP_1)
	v_xor_b32_e32 v2, v2, v4
	v_sub_co_u32 v6, vcc_lo, v2, v4
                                        ; implicit-def: $vgpr4_vgpr5
.LBB6_6:                                ;   in Loop: Header=BB6_3 Depth=1
	s_and_not1_saveexec_b32 s1, s16
; %bb.7:                                ;   in Loop: Header=BB6_3 Depth=1
	s_delay_alu instid0(VALU_DEP_3) | instskip(NEXT) | instid1(VALU_DEP_1)
	v_mul_hi_u32 v2, v4, v13
	v_mul_lo_u32 v5, v2, s20
	s_delay_alu instid0(VALU_DEP_1) | instskip(SKIP_1) | instid1(VALU_DEP_2)
	v_sub_nc_u32_e32 v4, v4, v5
	v_add_nc_u32_e32 v5, 1, v2
	v_subrev_nc_u32_e32 v6, s20, v4
	v_cmp_le_u32_e32 vcc_lo, s20, v4
	s_delay_alu instid0(VALU_DEP_2) | instskip(NEXT) | instid1(VALU_DEP_4)
	v_cndmask_b32_e32 v4, v4, v6, vcc_lo
	v_cndmask_b32_e32 v2, v2, v5, vcc_lo
	s_delay_alu instid0(VALU_DEP_2) | instskip(NEXT) | instid1(VALU_DEP_2)
	v_cmp_le_u32_e32 vcc_lo, s20, v4
	v_add_nc_u32_e32 v5, 1, v2
	s_delay_alu instid0(VALU_DEP_1)
	v_cndmask_b32_e32 v6, v2, v5, vcc_lo
; %bb.8:                                ;   in Loop: Header=BB6_3 Depth=1
	s_or_b32 exec_lo, exec_lo, s1
	v_sub_nc_u32_e32 v2, 0, v1
	s_mov_b32 s33, 0
	s_delay_alu instid0(VALU_DEP_1) | instskip(NEXT) | instid1(VALU_DEP_1)
	v_max_i32_e32 v2, v1, v2
	v_mul_hi_u32 v4, v2, v11
	s_delay_alu instid0(VALU_DEP_1) | instskip(NEXT) | instid1(VALU_DEP_1)
	v_mul_lo_u32 v5, v4, s21
	v_sub_nc_u32_e32 v2, v2, v5
	s_delay_alu instid0(VALU_DEP_1) | instskip(SKIP_1) | instid1(VALU_DEP_2)
	v_subrev_nc_u32_e32 v7, s21, v2
	v_cmp_le_u32_e32 vcc_lo, s21, v2
	v_dual_cndmask_b32 v2, v2, v7 :: v_dual_add_nc_u32 v5, 1, v4
	s_delay_alu instid0(VALU_DEP_1) | instskip(SKIP_1) | instid1(VALU_DEP_3)
	v_cndmask_b32_e32 v4, v4, v5, vcc_lo
	v_ashrrev_i32_e32 v5, 31, v1
	v_cmp_le_u32_e32 vcc_lo, s21, v2
	s_delay_alu instid0(VALU_DEP_3) | instskip(NEXT) | instid1(VALU_DEP_3)
	v_add_nc_u32_e32 v7, 1, v4
	v_xor_b32_e32 v5, s24, v5
	s_delay_alu instid0(VALU_DEP_2) | instskip(NEXT) | instid1(VALU_DEP_1)
	v_cndmask_b32_e32 v2, v4, v7, vcc_lo
	v_xor_b32_e32 v2, v2, v5
	s_delay_alu instid0(VALU_DEP_1) | instskip(NEXT) | instid1(VALU_DEP_1)
	v_sub_nc_u32_e32 v5, v2, v5
	v_mul_lo_u32 v2, v5, s6
	s_delay_alu instid0(VALU_DEP_1) | instskip(NEXT) | instid1(VALU_DEP_1)
	v_sub_nc_u32_e32 v2, v1, v2
	v_mul_lo_u32 v2, v2, s4
	s_delay_alu instid0(VALU_DEP_1) | instskip(NEXT) | instid1(VALU_DEP_1)
	v_sub_nc_u32_e32 v4, 0, v2
	v_max_i32_e32 v4, v2, v4
	v_ashrrev_i32_e32 v2, 31, v2
	s_delay_alu instid0(VALU_DEP_2) | instskip(NEXT) | instid1(VALU_DEP_2)
	v_mul_hi_u32 v7, v4, v11
	v_xor_b32_e32 v2, s24, v2
	s_delay_alu instid0(VALU_DEP_2) | instskip(NEXT) | instid1(VALU_DEP_1)
	v_mul_lo_u32 v8, v7, s21
	v_sub_nc_u32_e32 v4, v4, v8
	v_add_nc_u32_e32 v8, 1, v7
	s_delay_alu instid0(VALU_DEP_2) | instskip(SKIP_1) | instid1(VALU_DEP_2)
	v_subrev_nc_u32_e32 v9, s21, v4
	v_cmp_le_u32_e32 vcc_lo, s21, v4
	v_dual_cndmask_b32 v4, v4, v9 :: v_dual_cndmask_b32 v7, v7, v8
	s_delay_alu instid0(VALU_DEP_1) | instskip(NEXT) | instid1(VALU_DEP_2)
	v_cmp_le_u32_e32 vcc_lo, s21, v4
	v_add_nc_u32_e32 v8, 1, v7
	s_delay_alu instid0(VALU_DEP_1) | instskip(NEXT) | instid1(VALU_DEP_1)
	v_cndmask_b32_e32 v4, v7, v8, vcc_lo
	v_xor_b32_e32 v7, v4, v2
	v_mul_lo_u32 v4, v1, s7
	s_delay_alu instid0(VALU_DEP_2) | instskip(NEXT) | instid1(VALU_DEP_1)
	v_sub_nc_u32_e32 v2, v7, v2
	v_mad_u64_u32 v[7:8], null, v5, s4, v[2:3]
	s_delay_alu instid0(VALU_DEP_3) | instskip(NEXT) | instid1(VALU_DEP_1)
	v_ashrrev_i32_e32 v5, 31, v4
	v_lshlrev_b64 v[8:9], 1, v[4:5]
	s_delay_alu instid0(VALU_DEP_3) | instskip(SKIP_3) | instid1(VALU_DEP_4)
	v_sub_nc_u32_e32 v2, v6, v7
	v_ashrrev_i32_e32 v6, 31, v7
	v_mul_lo_u32 v10, s11, v7
	v_mad_u64_u32 v[4:5], null, s10, v7, s[8:9]
	v_add_nc_u32_e32 v7, 1, v2
	s_delay_alu instid0(VALU_DEP_4)
	v_mul_lo_u32 v6, s10, v6
	v_add_co_u32 v14, vcc_lo, s18, v8
	v_add_co_ci_u32_e32 v15, vcc_lo, s19, v9, vcc_lo
	v_cmp_gt_u32_e64 s1, 0x7fffffff, v2
	v_cvt_f32_i32_e32 v16, v7
	v_max_i32_e32 v17, 1, v7
	v_add3_u32 v5, v10, v5, v6
	v_mov_b32_e32 v2, v0
	s_branch .LBB6_11
.LBB6_9:                                ;   in Loop: Header=BB6_11 Depth=2
	s_set_inst_prefetch_distance 0x2
	s_or_b32 exec_lo, exec_lo, s15
.LBB6_10:                               ;   in Loop: Header=BB6_11 Depth=2
	s_delay_alu instid0(SALU_CYCLE_1) | instskip(SKIP_2) | instid1(VALU_DEP_2)
	s_or_b32 exec_lo, exec_lo, s14
	v_div_scale_f32 v6, null, v16, v16, v18
	v_div_scale_f32 v9, vcc_lo, v18, v16, v18
	v_rcp_f32_e32 v7, v6
	s_waitcnt_depctr 0xfff
	v_fma_f32 v8, -v6, v7, 1.0
	s_delay_alu instid0(VALU_DEP_1) | instskip(NEXT) | instid1(VALU_DEP_1)
	v_fmac_f32_e32 v7, v8, v7
	v_mul_f32_e32 v8, v9, v7
	s_delay_alu instid0(VALU_DEP_1) | instskip(NEXT) | instid1(VALU_DEP_1)
	v_fma_f32 v19, -v6, v8, v9
	v_fmac_f32_e32 v8, v19, v7
	s_delay_alu instid0(VALU_DEP_1) | instskip(NEXT) | instid1(VALU_DEP_1)
	v_fma_f32 v6, -v6, v8, v9
	v_div_fmas_f32 v6, v6, v7, v8
	v_cvt_f32_i32_e32 v8, v10
	s_delay_alu instid0(VALU_DEP_2) | instskip(NEXT) | instid1(VALU_DEP_1)
	v_div_fixup_f32 v9, v6, v16, v18
	v_div_scale_f32 v6, null, v8, v8, v9
	v_div_scale_f32 v18, vcc_lo, v9, v8, v9
	s_delay_alu instid0(VALU_DEP_2) | instskip(SKIP_2) | instid1(VALU_DEP_1)
	v_rcp_f32_e32 v10, v6
	s_waitcnt_depctr 0xfff
	v_fma_f32 v7, -v6, v10, 1.0
	v_fmac_f32_e32 v10, v7, v10
	s_delay_alu instid0(VALU_DEP_1) | instskip(NEXT) | instid1(VALU_DEP_1)
	v_mul_f32_e32 v19, v18, v10
	v_fma_f32 v7, -v6, v19, v18
	s_delay_alu instid0(VALU_DEP_1) | instskip(NEXT) | instid1(VALU_DEP_1)
	v_fmac_f32_e32 v19, v7, v10
	v_fma_f32 v18, -v6, v19, v18
	v_lshlrev_b64 v[6:7], 1, v[2:3]
	v_add_nc_u32_e32 v2, s23, v2
	s_delay_alu instid0(VALU_DEP_3) | instskip(NEXT) | instid1(VALU_DEP_2)
	v_div_fmas_f32 v10, v18, v10, v19
	v_cmp_le_i32_e32 vcc_lo, s7, v2
	s_delay_alu instid0(VALU_DEP_4) | instskip(NEXT) | instid1(VALU_DEP_3)
	v_add_co_u32 v6, s2, v14, v6
	v_div_fixup_f32 v8, v10, v8, v9
	v_add_co_ci_u32_e64 v7, s2, v15, v7, s2
	s_or_b32 s33, vcc_lo, s33
	s_delay_alu instid0(VALU_DEP_2)
	v_cvt_f16_f32_e32 v8, v8
	global_store_b16 v[6:7], v8, off
	s_and_not1_b32 exec_lo, exec_lo, s33
	s_cbranch_execz .LBB6_2
.LBB6_11:                               ;   Parent Loop BB6_3 Depth=1
                                        ; =>  This Loop Header: Depth=2
                                        ;       Child Loop BB6_18 Depth 3
                                        ;         Child Loop BB6_20 Depth 4
	s_delay_alu instid0(VALU_DEP_1) | instskip(NEXT) | instid1(VALU_DEP_1)
	v_add_nc_u32_e32 v10, 1, v2
	v_mad_u64_u32 v[6:7], null, v10, s27, -1
	s_delay_alu instid0(VALU_DEP_1) | instskip(NEXT) | instid1(VALU_DEP_1)
	v_mad_u64_u32 v[8:9], null, v10, s25, v[7:8]
	v_dual_mov_b32 v7, v8 :: v_dual_mov_b32 v8, v3
	s_delay_alu instid0(VALU_DEP_1) | instskip(NEXT) | instid1(VALU_DEP_1)
	v_or_b32_e32 v9, s26, v7
	v_cmp_ne_u64_e32 vcc_lo, 0, v[8:9]
                                        ; implicit-def: $vgpr8_vgpr9
	s_and_saveexec_b32 s2, vcc_lo
	s_delay_alu instid0(SALU_CYCLE_1)
	s_xor_b32 s3, exec_lo, s2
	s_cbranch_execz .LBB6_13
; %bb.12:                               ;   in Loop: Header=BB6_11 Depth=2
	s_add_u32 s16, s28, s26
	s_mov_b32 s14, s26
	s_mov_b32 s15, s26
	s_addc_u32 s17, s26, s26
	s_delay_alu instid0(SALU_CYCLE_1) | instskip(NEXT) | instid1(SALU_CYCLE_1)
	s_xor_b64 s[16:17], s[16:17], s[14:15]
	v_cvt_f32_u32_e32 v8, s16
	v_cvt_f32_u32_e32 v9, s17
	s_sub_u32 s2, 0, s16
	s_subb_u32 s15, 0, s17
	s_delay_alu instid0(VALU_DEP_1) | instskip(NEXT) | instid1(VALU_DEP_1)
	v_fmac_f32_e32 v8, 0x4f800000, v9
	v_rcp_f32_e32 v8, v8
	s_waitcnt_depctr 0xfff
	v_mul_f32_e32 v8, 0x5f7ffffc, v8
	s_delay_alu instid0(VALU_DEP_1) | instskip(NEXT) | instid1(VALU_DEP_1)
	v_mul_f32_e32 v9, 0x2f800000, v8
	v_trunc_f32_e32 v9, v9
	s_delay_alu instid0(VALU_DEP_1) | instskip(SKIP_1) | instid1(VALU_DEP_2)
	v_fmac_f32_e32 v8, 0xcf800000, v9
	v_cvt_u32_f32_e32 v9, v9
	v_cvt_u32_f32_e32 v8, v8
	s_delay_alu instid0(VALU_DEP_2) | instskip(NEXT) | instid1(VALU_DEP_2)
	v_mul_lo_u32 v10, s2, v9
	v_mul_hi_u32 v18, s2, v8
	v_mul_lo_u32 v19, s15, v8
	s_delay_alu instid0(VALU_DEP_2) | instskip(SKIP_1) | instid1(VALU_DEP_2)
	v_add_nc_u32_e32 v10, v18, v10
	v_mul_lo_u32 v18, s2, v8
	v_add_nc_u32_e32 v10, v10, v19
	s_delay_alu instid0(VALU_DEP_2) | instskip(NEXT) | instid1(VALU_DEP_2)
	v_mul_hi_u32 v19, v8, v18
	v_mul_lo_u32 v20, v8, v10
	v_mul_hi_u32 v21, v8, v10
	v_mul_hi_u32 v22, v9, v18
	v_mul_lo_u32 v18, v9, v18
	v_mul_hi_u32 v23, v9, v10
	v_mul_lo_u32 v10, v9, v10
	v_add_co_u32 v19, vcc_lo, v19, v20
	v_add_co_ci_u32_e32 v20, vcc_lo, 0, v21, vcc_lo
	s_delay_alu instid0(VALU_DEP_2) | instskip(NEXT) | instid1(VALU_DEP_2)
	v_add_co_u32 v18, vcc_lo, v19, v18
	v_add_co_ci_u32_e32 v18, vcc_lo, v20, v22, vcc_lo
	v_add_co_ci_u32_e32 v19, vcc_lo, 0, v23, vcc_lo
	v_ashrrev_i32_e32 v22, 31, v7
	s_delay_alu instid0(VALU_DEP_3) | instskip(NEXT) | instid1(VALU_DEP_3)
	v_add_co_u32 v10, vcc_lo, v18, v10
	v_add_co_ci_u32_e32 v18, vcc_lo, 0, v19, vcc_lo
	s_delay_alu instid0(VALU_DEP_2) | instskip(NEXT) | instid1(VALU_DEP_2)
	v_add_co_u32 v8, vcc_lo, v8, v10
	v_add_co_ci_u32_e32 v9, vcc_lo, v9, v18, vcc_lo
	s_delay_alu instid0(VALU_DEP_2) | instskip(SKIP_1) | instid1(VALU_DEP_3)
	v_mul_hi_u32 v10, s2, v8
	v_mul_lo_u32 v19, s15, v8
	v_mul_lo_u32 v18, s2, v9
	s_delay_alu instid0(VALU_DEP_1) | instskip(SKIP_1) | instid1(VALU_DEP_2)
	v_add_nc_u32_e32 v10, v10, v18
	v_mul_lo_u32 v18, s2, v8
	v_add_nc_u32_e32 v10, v10, v19
	s_delay_alu instid0(VALU_DEP_2) | instskip(NEXT) | instid1(VALU_DEP_2)
	v_mul_hi_u32 v19, v8, v18
	v_mul_lo_u32 v20, v8, v10
	v_mul_hi_u32 v21, v8, v10
	v_mul_hi_u32 v23, v9, v18
	v_mul_lo_u32 v18, v9, v18
	v_mul_hi_u32 v24, v9, v10
	v_mul_lo_u32 v10, v9, v10
	v_add_co_u32 v19, vcc_lo, v19, v20
	v_add_co_ci_u32_e32 v20, vcc_lo, 0, v21, vcc_lo
	s_delay_alu instid0(VALU_DEP_2) | instskip(NEXT) | instid1(VALU_DEP_2)
	v_add_co_u32 v18, vcc_lo, v19, v18
	v_add_co_ci_u32_e32 v18, vcc_lo, v20, v23, vcc_lo
	v_add_co_ci_u32_e32 v19, vcc_lo, 0, v24, vcc_lo
	v_add_co_u32 v6, vcc_lo, v6, v22
	v_add_co_ci_u32_e32 v7, vcc_lo, v7, v22, vcc_lo
	s_delay_alu instid0(VALU_DEP_4) | instskip(NEXT) | instid1(VALU_DEP_4)
	v_add_co_u32 v10, vcc_lo, v18, v10
	v_add_co_ci_u32_e32 v18, vcc_lo, 0, v19, vcc_lo
	s_delay_alu instid0(VALU_DEP_4) | instskip(NEXT) | instid1(VALU_DEP_3)
	v_xor_b32_e32 v20, v6, v22
	v_add_co_u32 v10, vcc_lo, v8, v10
	s_delay_alu instid0(VALU_DEP_3) | instskip(SKIP_1) | instid1(VALU_DEP_3)
	v_add_co_ci_u32_e32 v21, vcc_lo, v9, v18, vcc_lo
	v_xor_b32_e32 v23, v7, v22
	v_mul_hi_u32 v24, v20, v10
	s_delay_alu instid0(VALU_DEP_3) | instskip(NEXT) | instid1(VALU_DEP_3)
	v_mad_u64_u32 v[6:7], null, v20, v21, 0
	v_mad_u64_u32 v[8:9], null, v23, v10, 0
	;; [unrolled: 1-line block ×3, first 2 shown]
	s_delay_alu instid0(VALU_DEP_3) | instskip(NEXT) | instid1(VALU_DEP_4)
	v_add_co_u32 v6, vcc_lo, v24, v6
	v_add_co_ci_u32_e32 v7, vcc_lo, 0, v7, vcc_lo
	s_delay_alu instid0(VALU_DEP_2) | instskip(NEXT) | instid1(VALU_DEP_2)
	v_add_co_u32 v6, vcc_lo, v6, v8
	v_add_co_ci_u32_e32 v6, vcc_lo, v7, v9, vcc_lo
	v_add_co_ci_u32_e32 v7, vcc_lo, 0, v19, vcc_lo
	s_delay_alu instid0(VALU_DEP_2) | instskip(NEXT) | instid1(VALU_DEP_2)
	v_add_co_u32 v8, vcc_lo, v6, v18
	v_add_co_ci_u32_e32 v9, vcc_lo, 0, v7, vcc_lo
	s_delay_alu instid0(VALU_DEP_2) | instskip(SKIP_1) | instid1(VALU_DEP_3)
	v_mul_lo_u32 v10, s17, v8
	v_mad_u64_u32 v[6:7], null, s16, v8, 0
	v_mul_lo_u32 v9, s16, v9
	s_delay_alu instid0(VALU_DEP_2) | instskip(NEXT) | instid1(VALU_DEP_2)
	v_sub_co_u32 v6, vcc_lo, v20, v6
	v_add3_u32 v7, v7, v9, v10
	v_add_co_u32 v10, s2, v8, 2
	s_delay_alu instid0(VALU_DEP_2) | instskip(NEXT) | instid1(VALU_DEP_1)
	v_sub_nc_u32_e32 v9, v23, v7
	v_subrev_co_ci_u32_e64 v9, s2, s17, v9, vcc_lo
	v_sub_co_u32 v18, s2, v6, s16
	v_sub_co_ci_u32_e32 v7, vcc_lo, v23, v7, vcc_lo
	s_delay_alu instid0(VALU_DEP_3) | instskip(NEXT) | instid1(VALU_DEP_3)
	v_subrev_co_ci_u32_e64 v9, s2, 0, v9, s2
	v_cmp_le_u32_e32 vcc_lo, s16, v18
	v_cndmask_b32_e64 v18, 0, -1, vcc_lo
	s_delay_alu instid0(VALU_DEP_3)
	v_cmp_le_u32_e32 vcc_lo, s17, v9
	v_cndmask_b32_e64 v19, 0, -1, vcc_lo
	v_cmp_le_u32_e32 vcc_lo, s16, v6
	v_cndmask_b32_e64 v6, 0, -1, vcc_lo
	;; [unrolled: 2-line block ×3, first 2 shown]
	v_cmp_eq_u32_e32 vcc_lo, s17, v9
	v_cndmask_b32_e32 v9, v19, v18, vcc_lo
	v_add_co_u32 v18, vcc_lo, v8, 1
	v_cmp_eq_u32_e32 vcc_lo, s17, v7
	v_cndmask_b32_e32 v6, v20, v6, vcc_lo
	s_delay_alu instid0(VALU_DEP_4) | instskip(NEXT) | instid1(VALU_DEP_4)
	v_cmp_ne_u32_e32 vcc_lo, 0, v9
	v_cndmask_b32_e32 v7, v18, v10, vcc_lo
	s_delay_alu instid0(VALU_DEP_3) | instskip(NEXT) | instid1(VALU_DEP_2)
	v_cmp_ne_u32_e32 vcc_lo, 0, v6
	v_cndmask_b32_e32 v6, v8, v7, vcc_lo
	v_xor_b32_e32 v7, s14, v22
	s_delay_alu instid0(VALU_DEP_1) | instskip(NEXT) | instid1(VALU_DEP_1)
	v_xor_b32_e32 v6, v6, v7
	v_sub_co_u32 v8, vcc_lo, v6, v7
                                        ; implicit-def: $vgpr6_vgpr7
.LBB6_13:                               ;   in Loop: Header=BB6_11 Depth=2
	s_and_not1_saveexec_b32 s2, s3
	s_cbranch_execz .LBB6_15
; %bb.14:                               ;   in Loop: Header=BB6_11 Depth=2
	v_cvt_f32_u32_e32 v7, s28
	s_sub_i32 s3, 0, s28
	s_delay_alu instid0(VALU_DEP_1) | instskip(SKIP_2) | instid1(VALU_DEP_1)
	v_rcp_iflag_f32_e32 v7, v7
	s_waitcnt_depctr 0xfff
	v_mul_f32_e32 v7, 0x4f7ffffe, v7
	v_cvt_u32_f32_e32 v7, v7
	s_delay_alu instid0(VALU_DEP_1) | instskip(NEXT) | instid1(VALU_DEP_1)
	v_mul_lo_u32 v8, s3, v7
	v_mul_hi_u32 v8, v7, v8
	s_delay_alu instid0(VALU_DEP_1) | instskip(NEXT) | instid1(VALU_DEP_1)
	v_add_nc_u32_e32 v7, v7, v8
	v_mul_hi_u32 v7, v6, v7
	s_delay_alu instid0(VALU_DEP_1) | instskip(NEXT) | instid1(VALU_DEP_1)
	v_mul_lo_u32 v8, v7, s28
	v_sub_nc_u32_e32 v6, v6, v8
	v_add_nc_u32_e32 v8, 1, v7
	s_delay_alu instid0(VALU_DEP_2) | instskip(SKIP_1) | instid1(VALU_DEP_2)
	v_subrev_nc_u32_e32 v9, s28, v6
	v_cmp_le_u32_e32 vcc_lo, s28, v6
	v_dual_cndmask_b32 v6, v6, v9 :: v_dual_cndmask_b32 v7, v7, v8
	s_delay_alu instid0(VALU_DEP_1) | instskip(NEXT) | instid1(VALU_DEP_2)
	v_cmp_le_u32_e32 vcc_lo, s28, v6
	v_add_nc_u32_e32 v8, 1, v7
	s_delay_alu instid0(VALU_DEP_1)
	v_cndmask_b32_e32 v8, v7, v8, vcc_lo
.LBB6_15:                               ;   in Loop: Header=BB6_11 Depth=2
	s_or_b32 exec_lo, exec_lo, s2
	v_mul_lo_u32 v6, v2, s5
	v_mul_hi_u32 v9, v2, v12
	s_delay_alu instid0(VALU_DEP_2) | instskip(NEXT) | instid1(VALU_DEP_2)
	v_sub_nc_u32_e32 v7, 0, v6
	v_mul_lo_u32 v18, v9, s22
	v_add_nc_u32_e32 v20, 1, v9
	s_delay_alu instid0(VALU_DEP_3) | instskip(SKIP_1) | instid1(VALU_DEP_4)
	v_max_i32_e32 v7, v6, v7
	v_ashrrev_i32_e32 v6, 31, v6
	v_sub_nc_u32_e32 v18, v2, v18
	s_delay_alu instid0(VALU_DEP_3) | instskip(NEXT) | instid1(VALU_DEP_3)
	v_mul_hi_u32 v10, v7, v12
	v_xor_b32_e32 v6, s26, v6
	s_delay_alu instid0(VALU_DEP_3) | instskip(NEXT) | instid1(VALU_DEP_3)
	v_cmp_le_u32_e32 vcc_lo, s22, v18
	v_mul_lo_u32 v19, v10, s22
	v_cndmask_b32_e32 v9, v9, v20, vcc_lo
	v_subrev_nc_u32_e32 v20, s22, v18
	s_delay_alu instid0(VALU_DEP_1) | instskip(NEXT) | instid1(VALU_DEP_4)
	v_cndmask_b32_e32 v18, v18, v20, vcc_lo
	v_sub_nc_u32_e32 v7, v7, v19
	v_add_nc_u32_e32 v19, 1, v10
	s_delay_alu instid0(VALU_DEP_3) | instskip(NEXT) | instid1(VALU_DEP_3)
	v_cmp_le_u32_e32 vcc_lo, s22, v18
	v_cmp_le_u32_e64 s2, s22, v7
	v_subrev_nc_u32_e32 v21, s22, v7
	s_delay_alu instid0(VALU_DEP_2) | instskip(NEXT) | instid1(VALU_DEP_2)
	v_cndmask_b32_e64 v10, v10, v19, s2
	v_cndmask_b32_e64 v7, v7, v21, s2
	s_delay_alu instid0(VALU_DEP_2) | instskip(SKIP_1) | instid1(VALU_DEP_1)
	v_add_nc_u32_e32 v20, 1, v10
	v_add_nc_u32_e32 v19, 1, v9
	v_cndmask_b32_e32 v9, v9, v19, vcc_lo
	s_delay_alu instid0(VALU_DEP_4) | instskip(NEXT) | instid1(VALU_DEP_2)
	v_cmp_le_u32_e32 vcc_lo, s22, v7
	v_xor_b32_e32 v9, s26, v9
	v_cndmask_b32_e32 v7, v10, v20, vcc_lo
	s_delay_alu instid0(VALU_DEP_2) | instskip(NEXT) | instid1(VALU_DEP_2)
	v_subrev_nc_u32_e32 v18, s26, v9
	v_xor_b32_e32 v7, v7, v6
	s_delay_alu instid0(VALU_DEP_1) | instskip(NEXT) | instid1(VALU_DEP_1)
	v_sub_nc_u32_e32 v6, v7, v6
	v_mad_u64_u32 v[9:10], null, v18, s5, v[6:7]
	v_mov_b32_e32 v18, 0
	s_delay_alu instid0(VALU_DEP_2) | instskip(NEXT) | instid1(VALU_DEP_1)
	v_sub_nc_u32_e32 v8, v8, v9
	v_add_nc_u32_e32 v10, 1, v8
	s_and_saveexec_b32 s14, s1
	s_cbranch_execz .LBB6_10
; %bb.16:                               ;   in Loop: Header=BB6_11 Depth=2
	v_ashrrev_i32_e32 v18, 31, v9
	v_mad_u64_u32 v[6:7], null, s12, v9, v[4:5]
	v_mul_lo_u32 v9, s13, v9
	v_cmp_gt_u32_e32 vcc_lo, 0x7fffffff, v8
	s_delay_alu instid0(VALU_DEP_4) | instskip(SKIP_3) | instid1(VALU_DEP_2)
	v_mul_lo_u32 v18, s12, v18
	v_max_i32_e32 v19, 1, v10
	s_mov_b32 s15, 0
	s_mov_b32 s16, 0
	v_add3_u32 v7, v9, v7, v18
	v_mov_b32_e32 v18, 0
	s_set_inst_prefetch_distance 0x1
	s_branch .LBB6_18
	.p2align	6
.LBB6_17:                               ;   in Loop: Header=BB6_18 Depth=3
	s_or_b32 exec_lo, exec_lo, s17
	s_add_i32 s16, s16, 1
	v_add_co_u32 v6, s3, v6, s10
	v_cmp_eq_u32_e64 s2, s16, v17
	v_add_co_ci_u32_e64 v7, s3, s11, v7, s3
	s_delay_alu instid0(VALU_DEP_2) | instskip(NEXT) | instid1(SALU_CYCLE_1)
	s_or_b32 s15, s2, s15
	s_and_not1_b32 exec_lo, exec_lo, s15
	s_cbranch_execz .LBB6_9
.LBB6_18:                               ;   Parent Loop BB6_3 Depth=1
                                        ;     Parent Loop BB6_11 Depth=2
                                        ; =>    This Loop Header: Depth=3
                                        ;         Child Loop BB6_20 Depth 4
	s_and_saveexec_b32 s17, vcc_lo
	s_cbranch_execz .LBB6_17
; %bb.19:                               ;   in Loop: Header=BB6_18 Depth=3
	v_dual_mov_b32 v9, v7 :: v_dual_mov_b32 v8, v6
	v_mov_b32_e32 v20, v19
	s_mov_b32 s34, 0
.LBB6_20:                               ;   Parent Loop BB6_3 Depth=1
                                        ;     Parent Loop BB6_11 Depth=2
                                        ;       Parent Loop BB6_18 Depth=3
                                        ; =>      This Inner Loop Header: Depth=4
	global_load_u16 v21, v[8:9], off
	v_add_nc_u32_e32 v20, -1, v20
	v_add_co_u32 v8, s2, v8, s12
	s_delay_alu instid0(VALU_DEP_1) | instskip(NEXT) | instid1(VALU_DEP_3)
	v_add_co_ci_u32_e64 v9, s2, s13, v9, s2
	v_cmp_eq_u32_e64 s3, 0, v20
	s_delay_alu instid0(VALU_DEP_1) | instskip(SKIP_2) | instid1(VALU_DEP_1)
	s_or_b32 s34, s3, s34
	s_waitcnt vmcnt(0)
	v_cvt_f32_f16_e32 v21, v21
	v_add_f32_e32 v18, v18, v21
	s_and_not1_b32 exec_lo, exec_lo, s34
	s_cbranch_execnz .LBB6_20
; %bb.21:                               ;   in Loop: Header=BB6_18 Depth=3
	s_or_b32 exec_lo, exec_lo, s34
	s_branch .LBB6_17
.LBB6_22:
	s_nop 0
	s_sendmsg sendmsg(MSG_DEALLOC_VGPRS)
	s_endpgm
	.section	.rodata,"a",@progbits
	.p2align	6, 0x0
	.amdhsa_kernel _ZN2at6native12_GLOBAL__N_121adaptive_average_poolIN3c104HalfEEEvPKT_PS5_iiiilll
		.amdhsa_group_segment_fixed_size 0
		.amdhsa_private_segment_fixed_size 0
		.amdhsa_kernarg_size 312
		.amdhsa_user_sgpr_count 14
		.amdhsa_user_sgpr_dispatch_ptr 0
		.amdhsa_user_sgpr_queue_ptr 0
		.amdhsa_user_sgpr_kernarg_segment_ptr 1
		.amdhsa_user_sgpr_dispatch_id 0
		.amdhsa_user_sgpr_private_segment_size 0
		.amdhsa_wavefront_size32 1
		.amdhsa_uses_dynamic_stack 0
		.amdhsa_enable_private_segment 0
		.amdhsa_system_sgpr_workgroup_id_x 1
		.amdhsa_system_sgpr_workgroup_id_y 1
		.amdhsa_system_sgpr_workgroup_id_z 0
		.amdhsa_system_sgpr_workgroup_info 0
		.amdhsa_system_vgpr_workitem_id 1
		.amdhsa_next_free_vgpr 25
		.amdhsa_next_free_sgpr 36
		.amdhsa_reserve_vcc 1
		.amdhsa_float_round_mode_32 0
		.amdhsa_float_round_mode_16_64 0
		.amdhsa_float_denorm_mode_32 3
		.amdhsa_float_denorm_mode_16_64 3
		.amdhsa_dx10_clamp 1
		.amdhsa_ieee_mode 1
		.amdhsa_fp16_overflow 0
		.amdhsa_workgroup_processor_mode 1
		.amdhsa_memory_ordered 1
		.amdhsa_forward_progress 0
		.amdhsa_shared_vgpr_count 0
		.amdhsa_exception_fp_ieee_invalid_op 0
		.amdhsa_exception_fp_denorm_src 0
		.amdhsa_exception_fp_ieee_div_zero 0
		.amdhsa_exception_fp_ieee_overflow 0
		.amdhsa_exception_fp_ieee_underflow 0
		.amdhsa_exception_fp_ieee_inexact 0
		.amdhsa_exception_int_div_zero 0
	.end_amdhsa_kernel
	.section	.text._ZN2at6native12_GLOBAL__N_121adaptive_average_poolIN3c104HalfEEEvPKT_PS5_iiiilll,"axG",@progbits,_ZN2at6native12_GLOBAL__N_121adaptive_average_poolIN3c104HalfEEEvPKT_PS5_iiiilll,comdat
.Lfunc_end6:
	.size	_ZN2at6native12_GLOBAL__N_121adaptive_average_poolIN3c104HalfEEEvPKT_PS5_iiiilll, .Lfunc_end6-_ZN2at6native12_GLOBAL__N_121adaptive_average_poolIN3c104HalfEEEvPKT_PS5_iiiilll
                                        ; -- End function
	.section	.AMDGPU.csdata,"",@progbits
; Kernel info:
; codeLenInByte = 3424
; NumSgprs: 38
; NumVgprs: 25
; ScratchSize: 0
; MemoryBound: 0
; FloatMode: 240
; IeeeMode: 1
; LDSByteSize: 0 bytes/workgroup (compile time only)
; SGPRBlocks: 4
; VGPRBlocks: 3
; NumSGPRsForWavesPerEU: 38
; NumVGPRsForWavesPerEU: 25
; Occupancy: 16
; WaveLimiterHint : 0
; COMPUTE_PGM_RSRC2:SCRATCH_EN: 0
; COMPUTE_PGM_RSRC2:USER_SGPR: 14
; COMPUTE_PGM_RSRC2:TRAP_HANDLER: 0
; COMPUTE_PGM_RSRC2:TGID_X_EN: 1
; COMPUTE_PGM_RSRC2:TGID_Y_EN: 1
; COMPUTE_PGM_RSRC2:TGID_Z_EN: 0
; COMPUTE_PGM_RSRC2:TIDIG_COMP_CNT: 1
	.section	.text._ZN2at6native12_GLOBAL__N_121adaptive_average_poolIN3c108BFloat16EEEvPKT_PS5_iiiilll,"axG",@progbits,_ZN2at6native12_GLOBAL__N_121adaptive_average_poolIN3c108BFloat16EEEvPKT_PS5_iiiilll,comdat
	.globl	_ZN2at6native12_GLOBAL__N_121adaptive_average_poolIN3c108BFloat16EEEvPKT_PS5_iiiilll ; -- Begin function _ZN2at6native12_GLOBAL__N_121adaptive_average_poolIN3c108BFloat16EEEvPKT_PS5_iiiilll
	.p2align	8
	.type	_ZN2at6native12_GLOBAL__N_121adaptive_average_poolIN3c108BFloat16EEEvPKT_PS5_iiiilll,@function
_ZN2at6native12_GLOBAL__N_121adaptive_average_poolIN3c108BFloat16EEEvPKT_PS5_iiiilll: ; @_ZN2at6native12_GLOBAL__N_121adaptive_average_poolIN3c108BFloat16EEEvPKT_PS5_iiiilll
; %bb.0:
	s_clause 0x1
	s_load_b32 s13, s[0:1], 0x44
	s_load_b128 s[4:7], s[0:1], 0x10
	v_bfe_u32 v3, v0, 10, 10
	s_add_u32 s2, s0, 56
	s_addc_u32 s3, s1, 0
	s_mov_b32 s8, exec_lo
	s_waitcnt lgkmcnt(0)
	s_lshr_b32 s12, s13, 16
	s_delay_alu instid0(SALU_CYCLE_1) | instskip(NEXT) | instid1(VALU_DEP_1)
	v_mad_u64_u32 v[1:2], null, s15, s12, v[3:4]
	v_cmpx_gt_i32_e64 s6, v1
	s_cbranch_execz .LBB7_22
; %bb.1:
	s_clause 0x1
	s_load_b128 s[16:19], s[0:1], 0x0
	s_load_b128 s[8:11], s[0:1], 0x20
	s_mul_i32 s15, s14, s6
	s_load_b64 s[34:35], s[0:1], 0x30
	s_mul_i32 s22, s15, s7
	s_mov_b32 s20, s6
	s_ashr_i32 s23, s22, 31
	v_cvt_f32_u32_e32 v2, s20
	s_lshl_b64 s[0:1], s[22:23], 1
	s_load_b32 s29, s[2:3], 0x4
	v_and_b32_e32 v0, 0x3ff, v0
	s_mov_b32 s27, s5
	v_rcp_iflag_f32_e32 v2, v2
	s_mov_b32 s28, s7
	s_mov_b32 s30, 0
	s_waitcnt lgkmcnt(0)
	s_add_u32 s18, s18, s0
	s_addc_u32 s19, s19, s1
	s_abs_i32 s21, s6
	s_abs_i32 s22, s7
	v_cvt_f32_u32_e32 v3, s21
	v_cvt_f32_u32_e32 v4, s22
	s_and_b32 s23, s13, 0xffff
	s_sub_i32 s13, 0, s21
	s_ashr_i32 s3, s14, 31
	v_rcp_iflag_f32_e32 v3, v3
	s_waitcnt_depctr 0xfff
	v_mul_f32_e32 v2, 0x4f7ffffe, v2
	v_rcp_iflag_f32_e32 v4, v4
	s_mul_hi_u32 s2, s8, s14
	s_mul_i32 s3, s8, s3
	s_mul_i32 s1, s9, s14
	s_add_i32 s2, s2, s3
	s_mul_i32 s0, s8, s14
	s_add_i32 s1, s2, s1
	s_ashr_i32 s24, s6, 31
	v_mul_f32_e32 v3, 0x4f7ffffe, v3
	v_cvt_u32_f32_e32 v2, v2
	s_waitcnt_depctr 0xfff
	v_mul_f32_e32 v4, 0x4f7ffffe, v4
	s_lshl_b64 s[0:1], s[0:1], 1
	s_ashr_i32 s25, s5, 31
	v_cvt_u32_f32_e32 v5, v3
	s_ashr_i32 s26, s7, 31
	s_sub_i32 s2, 0, s22
	s_add_u32 s8, s16, s0
	s_addc_u32 s9, s17, s1
	v_mul_lo_u32 v3, s13, v5
	s_sub_i32 s0, 0, s6
	s_mul_i32 s29, s29, s12
	v_mul_lo_u32 v7, s0, v2
	v_cmp_gt_i32_e64 s0, s7, v0
	s_lshl_b64 s[10:11], s[10:11], 1
	s_lshl_b64 s[12:13], s[34:35], 1
	s_delay_alu instid0(VALU_DEP_3) | instskip(SKIP_3) | instid1(VALU_DEP_2)
	v_mul_hi_u32 v8, v5, v3
	v_mov_b32_e32 v3, 0
	v_cvt_u32_f32_e32 v4, v4
	v_mul_hi_u32 v7, v2, v7
	v_mul_lo_u32 v6, s2, v4
	v_add_nc_u32_e32 v11, v5, v8
	s_delay_alu instid0(VALU_DEP_3) | instskip(NEXT) | instid1(VALU_DEP_3)
	v_add_nc_u32_e32 v13, v2, v7
	v_mul_hi_u32 v6, v4, v6
	s_delay_alu instid0(VALU_DEP_1)
	v_add_nc_u32_e32 v12, v4, v6
	s_branch .LBB7_3
.LBB7_2:                                ;   in Loop: Header=BB7_3 Depth=1
	s_or_b32 exec_lo, exec_lo, s31
	v_add_nc_u32_e32 v1, s29, v1
	s_delay_alu instid0(VALU_DEP_1) | instskip(SKIP_1) | instid1(SALU_CYCLE_1)
	v_cmp_le_i32_e32 vcc_lo, s6, v1
	s_or_b32 s30, vcc_lo, s30
	s_and_not1_b32 exec_lo, exec_lo, s30
	s_cbranch_execz .LBB7_22
.LBB7_3:                                ; =>This Loop Header: Depth=1
                                        ;     Child Loop BB7_11 Depth 2
                                        ;       Child Loop BB7_18 Depth 3
                                        ;         Child Loop BB7_20 Depth 4
	s_and_saveexec_b32 s31, s0
	s_cbranch_execz .LBB7_2
; %bb.4:                                ;   in Loop: Header=BB7_3 Depth=1
	v_add_nc_u32_e32 v2, 1, v1
	v_mov_b32_e32 v6, v3
	s_delay_alu instid0(VALU_DEP_2) | instskip(NEXT) | instid1(VALU_DEP_1)
	v_mad_i64_i32 v[4:5], null, v2, s4, -1
	v_or_b32_e32 v7, s24, v5
	s_delay_alu instid0(VALU_DEP_1) | instskip(SKIP_1) | instid1(SALU_CYCLE_1)
	v_cmp_ne_u64_e32 vcc_lo, 0, v[6:7]
                                        ; implicit-def: $vgpr6_vgpr7
	s_and_saveexec_b32 s1, vcc_lo
	s_xor_b32 s16, exec_lo, s1
	s_cbranch_execz .LBB7_6
; %bb.5:                                ;   in Loop: Header=BB7_3 Depth=1
	s_add_u32 s14, s20, s24
	s_mov_b32 s2, s24
	s_mov_b32 s3, s24
	s_addc_u32 s15, s24, s24
	s_delay_alu instid0(SALU_CYCLE_1) | instskip(NEXT) | instid1(SALU_CYCLE_1)
	s_xor_b64 s[14:15], s[14:15], s[2:3]
	v_cvt_f32_u32_e32 v2, s14
	v_cvt_f32_u32_e32 v6, s15
	s_sub_u32 s1, 0, s14
	s_subb_u32 s3, 0, s15
	s_delay_alu instid0(VALU_DEP_1) | instskip(NEXT) | instid1(VALU_DEP_1)
	v_fmac_f32_e32 v2, 0x4f800000, v6
	v_rcp_f32_e32 v2, v2
	s_waitcnt_depctr 0xfff
	v_mul_f32_e32 v2, 0x5f7ffffc, v2
	s_delay_alu instid0(VALU_DEP_1) | instskip(NEXT) | instid1(VALU_DEP_1)
	v_mul_f32_e32 v6, 0x2f800000, v2
	v_trunc_f32_e32 v6, v6
	s_delay_alu instid0(VALU_DEP_1) | instskip(SKIP_1) | instid1(VALU_DEP_2)
	v_fmac_f32_e32 v2, 0xcf800000, v6
	v_cvt_u32_f32_e32 v6, v6
	v_cvt_u32_f32_e32 v2, v2
	s_delay_alu instid0(VALU_DEP_2) | instskip(NEXT) | instid1(VALU_DEP_2)
	v_mul_lo_u32 v7, s1, v6
	v_mul_hi_u32 v8, s1, v2
	v_mul_lo_u32 v9, s3, v2
	s_delay_alu instid0(VALU_DEP_2) | instskip(SKIP_1) | instid1(VALU_DEP_2)
	v_add_nc_u32_e32 v7, v8, v7
	v_mul_lo_u32 v8, s1, v2
	v_add_nc_u32_e32 v7, v7, v9
	s_delay_alu instid0(VALU_DEP_2) | instskip(NEXT) | instid1(VALU_DEP_2)
	v_mul_hi_u32 v9, v2, v8
	v_mul_lo_u32 v10, v2, v7
	v_mul_hi_u32 v14, v2, v7
	v_mul_hi_u32 v15, v6, v8
	v_mul_lo_u32 v8, v6, v8
	v_mul_hi_u32 v16, v6, v7
	v_mul_lo_u32 v7, v6, v7
	v_add_co_u32 v9, vcc_lo, v9, v10
	v_add_co_ci_u32_e32 v10, vcc_lo, 0, v14, vcc_lo
	s_delay_alu instid0(VALU_DEP_2) | instskip(NEXT) | instid1(VALU_DEP_2)
	v_add_co_u32 v8, vcc_lo, v9, v8
	v_add_co_ci_u32_e32 v8, vcc_lo, v10, v15, vcc_lo
	v_add_co_ci_u32_e32 v9, vcc_lo, 0, v16, vcc_lo
	v_ashrrev_i32_e32 v15, 31, v5
	s_delay_alu instid0(VALU_DEP_3) | instskip(NEXT) | instid1(VALU_DEP_3)
	v_add_co_u32 v7, vcc_lo, v8, v7
	v_add_co_ci_u32_e32 v8, vcc_lo, 0, v9, vcc_lo
	s_delay_alu instid0(VALU_DEP_2) | instskip(NEXT) | instid1(VALU_DEP_2)
	v_add_co_u32 v2, vcc_lo, v2, v7
	v_add_co_ci_u32_e32 v6, vcc_lo, v6, v8, vcc_lo
	s_delay_alu instid0(VALU_DEP_2) | instskip(SKIP_1) | instid1(VALU_DEP_3)
	v_mul_hi_u32 v7, s1, v2
	v_mul_lo_u32 v9, s3, v2
	v_mul_lo_u32 v8, s1, v6
	s_delay_alu instid0(VALU_DEP_1) | instskip(SKIP_1) | instid1(VALU_DEP_2)
	v_add_nc_u32_e32 v7, v7, v8
	v_mul_lo_u32 v8, s1, v2
	v_add_nc_u32_e32 v7, v7, v9
	s_delay_alu instid0(VALU_DEP_2) | instskip(NEXT) | instid1(VALU_DEP_2)
	v_mul_hi_u32 v9, v2, v8
	v_mul_lo_u32 v10, v2, v7
	v_mul_hi_u32 v14, v2, v7
	v_mul_hi_u32 v16, v6, v8
	v_mul_lo_u32 v8, v6, v8
	v_mul_hi_u32 v17, v6, v7
	v_mul_lo_u32 v7, v6, v7
	v_add_co_u32 v9, vcc_lo, v9, v10
	v_add_co_ci_u32_e32 v10, vcc_lo, 0, v14, vcc_lo
	s_delay_alu instid0(VALU_DEP_2) | instskip(NEXT) | instid1(VALU_DEP_2)
	v_add_co_u32 v8, vcc_lo, v9, v8
	v_add_co_ci_u32_e32 v8, vcc_lo, v10, v16, vcc_lo
	v_add_co_ci_u32_e32 v9, vcc_lo, 0, v17, vcc_lo
	v_add_co_u32 v4, vcc_lo, v4, v15
	v_add_co_ci_u32_e32 v5, vcc_lo, v5, v15, vcc_lo
	s_delay_alu instid0(VALU_DEP_4) | instskip(NEXT) | instid1(VALU_DEP_4)
	v_add_co_u32 v7, vcc_lo, v8, v7
	v_add_co_ci_u32_e32 v8, vcc_lo, 0, v9, vcc_lo
	s_delay_alu instid0(VALU_DEP_4) | instskip(NEXT) | instid1(VALU_DEP_3)
	v_xor_b32_e32 v10, v4, v15
	v_add_co_u32 v2, vcc_lo, v2, v7
	s_delay_alu instid0(VALU_DEP_3) | instskip(SKIP_1) | instid1(VALU_DEP_3)
	v_add_co_ci_u32_e32 v14, vcc_lo, v6, v8, vcc_lo
	v_xor_b32_e32 v16, v5, v15
	v_mul_hi_u32 v17, v10, v2
	s_delay_alu instid0(VALU_DEP_3) | instskip(NEXT) | instid1(VALU_DEP_3)
	v_mad_u64_u32 v[4:5], null, v10, v14, 0
	v_mad_u64_u32 v[6:7], null, v16, v2, 0
	;; [unrolled: 1-line block ×3, first 2 shown]
	s_delay_alu instid0(VALU_DEP_3) | instskip(NEXT) | instid1(VALU_DEP_4)
	v_add_co_u32 v2, vcc_lo, v17, v4
	v_add_co_ci_u32_e32 v4, vcc_lo, 0, v5, vcc_lo
	s_delay_alu instid0(VALU_DEP_2) | instskip(NEXT) | instid1(VALU_DEP_2)
	v_add_co_u32 v2, vcc_lo, v2, v6
	v_add_co_ci_u32_e32 v2, vcc_lo, v4, v7, vcc_lo
	v_add_co_ci_u32_e32 v4, vcc_lo, 0, v9, vcc_lo
	s_delay_alu instid0(VALU_DEP_2) | instskip(NEXT) | instid1(VALU_DEP_2)
	v_add_co_u32 v2, vcc_lo, v2, v8
	v_add_co_ci_u32_e32 v6, vcc_lo, 0, v4, vcc_lo
	s_delay_alu instid0(VALU_DEP_2) | instskip(SKIP_1) | instid1(VALU_DEP_3)
	v_mul_lo_u32 v7, s15, v2
	v_mad_u64_u32 v[4:5], null, s14, v2, 0
	v_mul_lo_u32 v6, s14, v6
	s_delay_alu instid0(VALU_DEP_2) | instskip(NEXT) | instid1(VALU_DEP_2)
	v_sub_co_u32 v4, vcc_lo, v10, v4
	v_add3_u32 v5, v5, v6, v7
	v_add_co_u32 v7, s1, v2, 2
	s_delay_alu instid0(VALU_DEP_2) | instskip(NEXT) | instid1(VALU_DEP_1)
	v_sub_nc_u32_e32 v6, v16, v5
	v_subrev_co_ci_u32_e64 v6, s1, s15, v6, vcc_lo
	v_sub_co_u32 v8, s1, v4, s14
	v_sub_co_ci_u32_e32 v5, vcc_lo, v16, v5, vcc_lo
	s_delay_alu instid0(VALU_DEP_3) | instskip(NEXT) | instid1(VALU_DEP_3)
	v_subrev_co_ci_u32_e64 v6, s1, 0, v6, s1
	v_cmp_le_u32_e32 vcc_lo, s14, v8
	v_cndmask_b32_e64 v8, 0, -1, vcc_lo
	s_delay_alu instid0(VALU_DEP_3)
	v_cmp_le_u32_e32 vcc_lo, s15, v6
	v_cndmask_b32_e64 v9, 0, -1, vcc_lo
	v_cmp_le_u32_e32 vcc_lo, s14, v4
	v_cndmask_b32_e64 v4, 0, -1, vcc_lo
	;; [unrolled: 2-line block ×3, first 2 shown]
	v_cmp_eq_u32_e32 vcc_lo, s15, v6
	v_cndmask_b32_e32 v6, v9, v8, vcc_lo
	v_add_co_u32 v8, vcc_lo, v2, 1
	v_cmp_eq_u32_e32 vcc_lo, s15, v5
	v_cndmask_b32_e32 v4, v10, v4, vcc_lo
	s_delay_alu instid0(VALU_DEP_4) | instskip(NEXT) | instid1(VALU_DEP_4)
	v_cmp_ne_u32_e32 vcc_lo, 0, v6
	v_cndmask_b32_e32 v5, v8, v7, vcc_lo
	s_delay_alu instid0(VALU_DEP_3) | instskip(SKIP_1) | instid1(VALU_DEP_3)
	v_cmp_ne_u32_e32 vcc_lo, 0, v4
	v_xor_b32_e32 v4, s2, v15
	v_cndmask_b32_e32 v2, v2, v5, vcc_lo
	s_delay_alu instid0(VALU_DEP_1) | instskip(NEXT) | instid1(VALU_DEP_1)
	v_xor_b32_e32 v2, v2, v4
	v_sub_co_u32 v6, vcc_lo, v2, v4
                                        ; implicit-def: $vgpr4_vgpr5
.LBB7_6:                                ;   in Loop: Header=BB7_3 Depth=1
	s_and_not1_saveexec_b32 s1, s16
; %bb.7:                                ;   in Loop: Header=BB7_3 Depth=1
	s_delay_alu instid0(VALU_DEP_3) | instskip(NEXT) | instid1(VALU_DEP_1)
	v_mul_hi_u32 v2, v4, v13
	v_mul_lo_u32 v5, v2, s20
	s_delay_alu instid0(VALU_DEP_1) | instskip(SKIP_1) | instid1(VALU_DEP_2)
	v_sub_nc_u32_e32 v4, v4, v5
	v_add_nc_u32_e32 v5, 1, v2
	v_subrev_nc_u32_e32 v6, s20, v4
	v_cmp_le_u32_e32 vcc_lo, s20, v4
	s_delay_alu instid0(VALU_DEP_2) | instskip(NEXT) | instid1(VALU_DEP_4)
	v_cndmask_b32_e32 v4, v4, v6, vcc_lo
	v_cndmask_b32_e32 v2, v2, v5, vcc_lo
	s_delay_alu instid0(VALU_DEP_2) | instskip(NEXT) | instid1(VALU_DEP_2)
	v_cmp_le_u32_e32 vcc_lo, s20, v4
	v_add_nc_u32_e32 v5, 1, v2
	s_delay_alu instid0(VALU_DEP_1)
	v_cndmask_b32_e32 v6, v2, v5, vcc_lo
; %bb.8:                                ;   in Loop: Header=BB7_3 Depth=1
	s_or_b32 exec_lo, exec_lo, s1
	v_sub_nc_u32_e32 v2, 0, v1
	s_mov_b32 s33, 0
	s_delay_alu instid0(VALU_DEP_1) | instskip(NEXT) | instid1(VALU_DEP_1)
	v_max_i32_e32 v2, v1, v2
	v_mul_hi_u32 v4, v2, v11
	s_delay_alu instid0(VALU_DEP_1) | instskip(NEXT) | instid1(VALU_DEP_1)
	v_mul_lo_u32 v5, v4, s21
	v_sub_nc_u32_e32 v2, v2, v5
	s_delay_alu instid0(VALU_DEP_1) | instskip(SKIP_1) | instid1(VALU_DEP_2)
	v_subrev_nc_u32_e32 v7, s21, v2
	v_cmp_le_u32_e32 vcc_lo, s21, v2
	v_dual_cndmask_b32 v2, v2, v7 :: v_dual_add_nc_u32 v5, 1, v4
	s_delay_alu instid0(VALU_DEP_1) | instskip(SKIP_1) | instid1(VALU_DEP_3)
	v_cndmask_b32_e32 v4, v4, v5, vcc_lo
	v_ashrrev_i32_e32 v5, 31, v1
	v_cmp_le_u32_e32 vcc_lo, s21, v2
	s_delay_alu instid0(VALU_DEP_3) | instskip(NEXT) | instid1(VALU_DEP_3)
	v_add_nc_u32_e32 v7, 1, v4
	v_xor_b32_e32 v5, s24, v5
	s_delay_alu instid0(VALU_DEP_2) | instskip(NEXT) | instid1(VALU_DEP_1)
	v_cndmask_b32_e32 v2, v4, v7, vcc_lo
	v_xor_b32_e32 v2, v2, v5
	s_delay_alu instid0(VALU_DEP_1) | instskip(NEXT) | instid1(VALU_DEP_1)
	v_sub_nc_u32_e32 v5, v2, v5
	v_mul_lo_u32 v2, v5, s6
	s_delay_alu instid0(VALU_DEP_1) | instskip(NEXT) | instid1(VALU_DEP_1)
	v_sub_nc_u32_e32 v2, v1, v2
	v_mul_lo_u32 v2, v2, s4
	s_delay_alu instid0(VALU_DEP_1) | instskip(NEXT) | instid1(VALU_DEP_1)
	v_sub_nc_u32_e32 v4, 0, v2
	v_max_i32_e32 v4, v2, v4
	v_ashrrev_i32_e32 v2, 31, v2
	s_delay_alu instid0(VALU_DEP_2) | instskip(NEXT) | instid1(VALU_DEP_2)
	v_mul_hi_u32 v7, v4, v11
	v_xor_b32_e32 v2, s24, v2
	s_delay_alu instid0(VALU_DEP_2) | instskip(NEXT) | instid1(VALU_DEP_1)
	v_mul_lo_u32 v8, v7, s21
	v_sub_nc_u32_e32 v4, v4, v8
	v_add_nc_u32_e32 v8, 1, v7
	s_delay_alu instid0(VALU_DEP_2) | instskip(SKIP_1) | instid1(VALU_DEP_2)
	v_subrev_nc_u32_e32 v9, s21, v4
	v_cmp_le_u32_e32 vcc_lo, s21, v4
	v_dual_cndmask_b32 v4, v4, v9 :: v_dual_cndmask_b32 v7, v7, v8
	s_delay_alu instid0(VALU_DEP_1) | instskip(NEXT) | instid1(VALU_DEP_2)
	v_cmp_le_u32_e32 vcc_lo, s21, v4
	v_add_nc_u32_e32 v8, 1, v7
	s_delay_alu instid0(VALU_DEP_1) | instskip(NEXT) | instid1(VALU_DEP_1)
	v_cndmask_b32_e32 v4, v7, v8, vcc_lo
	v_xor_b32_e32 v7, v4, v2
	v_mul_lo_u32 v4, v1, s7
	s_delay_alu instid0(VALU_DEP_2) | instskip(NEXT) | instid1(VALU_DEP_1)
	v_sub_nc_u32_e32 v2, v7, v2
	v_mad_u64_u32 v[7:8], null, v5, s4, v[2:3]
	s_delay_alu instid0(VALU_DEP_3) | instskip(NEXT) | instid1(VALU_DEP_1)
	v_ashrrev_i32_e32 v5, 31, v4
	v_lshlrev_b64 v[8:9], 1, v[4:5]
	s_delay_alu instid0(VALU_DEP_3) | instskip(SKIP_3) | instid1(VALU_DEP_4)
	v_sub_nc_u32_e32 v2, v6, v7
	v_ashrrev_i32_e32 v6, 31, v7
	v_mul_lo_u32 v10, s11, v7
	v_mad_u64_u32 v[4:5], null, s10, v7, s[8:9]
	v_add_nc_u32_e32 v7, 1, v2
	s_delay_alu instid0(VALU_DEP_4)
	v_mul_lo_u32 v6, s10, v6
	v_add_co_u32 v14, vcc_lo, s18, v8
	v_add_co_ci_u32_e32 v15, vcc_lo, s19, v9, vcc_lo
	v_cmp_gt_u32_e64 s1, 0x7fffffff, v2
	v_cvt_f32_i32_e32 v16, v7
	v_max_i32_e32 v17, 1, v7
	v_add3_u32 v5, v10, v5, v6
	v_mov_b32_e32 v2, v0
	s_branch .LBB7_11
.LBB7_9:                                ;   in Loop: Header=BB7_11 Depth=2
	s_set_inst_prefetch_distance 0x2
	s_or_b32 exec_lo, exec_lo, s15
.LBB7_10:                               ;   in Loop: Header=BB7_11 Depth=2
	s_delay_alu instid0(SALU_CYCLE_1) | instskip(SKIP_2) | instid1(VALU_DEP_2)
	s_or_b32 exec_lo, exec_lo, s14
	v_div_scale_f32 v6, null, v16, v16, v18
	v_div_scale_f32 v9, vcc_lo, v18, v16, v18
	v_rcp_f32_e32 v7, v6
	s_waitcnt_depctr 0xfff
	v_fma_f32 v8, -v6, v7, 1.0
	s_delay_alu instid0(VALU_DEP_1) | instskip(NEXT) | instid1(VALU_DEP_1)
	v_fmac_f32_e32 v7, v8, v7
	v_mul_f32_e32 v8, v9, v7
	s_delay_alu instid0(VALU_DEP_1) | instskip(NEXT) | instid1(VALU_DEP_1)
	v_fma_f32 v19, -v6, v8, v9
	v_fmac_f32_e32 v8, v19, v7
	s_delay_alu instid0(VALU_DEP_1) | instskip(NEXT) | instid1(VALU_DEP_1)
	v_fma_f32 v6, -v6, v8, v9
	v_div_fmas_f32 v6, v6, v7, v8
	v_cvt_f32_i32_e32 v7, v10
	s_delay_alu instid0(VALU_DEP_2) | instskip(NEXT) | instid1(VALU_DEP_1)
	v_div_fixup_f32 v6, v6, v16, v18
	v_div_scale_f32 v8, null, v7, v7, v6
	v_div_scale_f32 v18, vcc_lo, v6, v7, v6
	s_delay_alu instid0(VALU_DEP_2) | instskip(SKIP_2) | instid1(VALU_DEP_1)
	v_rcp_f32_e32 v9, v8
	s_waitcnt_depctr 0xfff
	v_fma_f32 v10, -v8, v9, 1.0
	v_fmac_f32_e32 v9, v10, v9
	s_delay_alu instid0(VALU_DEP_1) | instskip(NEXT) | instid1(VALU_DEP_1)
	v_mul_f32_e32 v10, v18, v9
	v_fma_f32 v19, -v8, v10, v18
	s_delay_alu instid0(VALU_DEP_1) | instskip(NEXT) | instid1(VALU_DEP_1)
	v_fmac_f32_e32 v10, v19, v9
	v_fma_f32 v8, -v8, v10, v18
	s_delay_alu instid0(VALU_DEP_1) | instskip(NEXT) | instid1(VALU_DEP_1)
	v_div_fmas_f32 v8, v8, v9, v10
	v_div_fixup_f32 v8, v8, v7, v6
	s_delay_alu instid0(VALU_DEP_1) | instskip(SKIP_1) | instid1(VALU_DEP_2)
	v_bfe_u32 v6, v8, 16, 1
	v_cmp_o_f32_e64 s2, v8, v8
	v_add3_u32 v9, v8, v6, 0x7fff
	v_lshlrev_b64 v[6:7], 1, v[2:3]
	v_add_nc_u32_e32 v2, s23, v2
	s_delay_alu instid0(VALU_DEP_3) | instskip(NEXT) | instid1(VALU_DEP_3)
	v_lshrrev_b32_e32 v9, 16, v9
	v_add_co_u32 v6, vcc_lo, v14, v6
	s_delay_alu instid0(VALU_DEP_4) | instskip(NEXT) | instid1(VALU_DEP_4)
	v_add_co_ci_u32_e32 v7, vcc_lo, v15, v7, vcc_lo
	v_cmp_le_i32_e32 vcc_lo, s7, v2
	s_delay_alu instid0(VALU_DEP_4)
	v_cndmask_b32_e64 v8, 0x7fc0, v9, s2
	s_or_b32 s33, vcc_lo, s33
	global_store_b16 v[6:7], v8, off
	s_and_not1_b32 exec_lo, exec_lo, s33
	s_cbranch_execz .LBB7_2
.LBB7_11:                               ;   Parent Loop BB7_3 Depth=1
                                        ; =>  This Loop Header: Depth=2
                                        ;       Child Loop BB7_18 Depth 3
                                        ;         Child Loop BB7_20 Depth 4
	s_delay_alu instid0(VALU_DEP_1) | instskip(NEXT) | instid1(VALU_DEP_1)
	v_add_nc_u32_e32 v10, 1, v2
	v_mad_u64_u32 v[6:7], null, v10, s27, -1
	s_delay_alu instid0(VALU_DEP_1) | instskip(NEXT) | instid1(VALU_DEP_1)
	v_mad_u64_u32 v[8:9], null, v10, s25, v[7:8]
	v_dual_mov_b32 v7, v8 :: v_dual_mov_b32 v8, v3
	s_delay_alu instid0(VALU_DEP_1) | instskip(NEXT) | instid1(VALU_DEP_1)
	v_or_b32_e32 v9, s26, v7
	v_cmp_ne_u64_e32 vcc_lo, 0, v[8:9]
                                        ; implicit-def: $vgpr8_vgpr9
	s_and_saveexec_b32 s2, vcc_lo
	s_delay_alu instid0(SALU_CYCLE_1)
	s_xor_b32 s3, exec_lo, s2
	s_cbranch_execz .LBB7_13
; %bb.12:                               ;   in Loop: Header=BB7_11 Depth=2
	s_add_u32 s16, s28, s26
	s_mov_b32 s14, s26
	s_mov_b32 s15, s26
	s_addc_u32 s17, s26, s26
	s_delay_alu instid0(SALU_CYCLE_1) | instskip(NEXT) | instid1(SALU_CYCLE_1)
	s_xor_b64 s[16:17], s[16:17], s[14:15]
	v_cvt_f32_u32_e32 v8, s16
	v_cvt_f32_u32_e32 v9, s17
	s_sub_u32 s2, 0, s16
	s_subb_u32 s15, 0, s17
	s_delay_alu instid0(VALU_DEP_1) | instskip(NEXT) | instid1(VALU_DEP_1)
	v_fmac_f32_e32 v8, 0x4f800000, v9
	v_rcp_f32_e32 v8, v8
	s_waitcnt_depctr 0xfff
	v_mul_f32_e32 v8, 0x5f7ffffc, v8
	s_delay_alu instid0(VALU_DEP_1) | instskip(NEXT) | instid1(VALU_DEP_1)
	v_mul_f32_e32 v9, 0x2f800000, v8
	v_trunc_f32_e32 v9, v9
	s_delay_alu instid0(VALU_DEP_1) | instskip(SKIP_1) | instid1(VALU_DEP_2)
	v_fmac_f32_e32 v8, 0xcf800000, v9
	v_cvt_u32_f32_e32 v9, v9
	v_cvt_u32_f32_e32 v8, v8
	s_delay_alu instid0(VALU_DEP_2) | instskip(NEXT) | instid1(VALU_DEP_2)
	v_mul_lo_u32 v10, s2, v9
	v_mul_hi_u32 v18, s2, v8
	v_mul_lo_u32 v19, s15, v8
	s_delay_alu instid0(VALU_DEP_2) | instskip(SKIP_1) | instid1(VALU_DEP_2)
	v_add_nc_u32_e32 v10, v18, v10
	v_mul_lo_u32 v18, s2, v8
	v_add_nc_u32_e32 v10, v10, v19
	s_delay_alu instid0(VALU_DEP_2) | instskip(NEXT) | instid1(VALU_DEP_2)
	v_mul_hi_u32 v19, v8, v18
	v_mul_lo_u32 v20, v8, v10
	v_mul_hi_u32 v21, v8, v10
	v_mul_hi_u32 v22, v9, v18
	v_mul_lo_u32 v18, v9, v18
	v_mul_hi_u32 v23, v9, v10
	v_mul_lo_u32 v10, v9, v10
	v_add_co_u32 v19, vcc_lo, v19, v20
	v_add_co_ci_u32_e32 v20, vcc_lo, 0, v21, vcc_lo
	s_delay_alu instid0(VALU_DEP_2) | instskip(NEXT) | instid1(VALU_DEP_2)
	v_add_co_u32 v18, vcc_lo, v19, v18
	v_add_co_ci_u32_e32 v18, vcc_lo, v20, v22, vcc_lo
	v_add_co_ci_u32_e32 v19, vcc_lo, 0, v23, vcc_lo
	v_ashrrev_i32_e32 v22, 31, v7
	s_delay_alu instid0(VALU_DEP_3) | instskip(NEXT) | instid1(VALU_DEP_3)
	v_add_co_u32 v10, vcc_lo, v18, v10
	v_add_co_ci_u32_e32 v18, vcc_lo, 0, v19, vcc_lo
	s_delay_alu instid0(VALU_DEP_2) | instskip(NEXT) | instid1(VALU_DEP_2)
	v_add_co_u32 v8, vcc_lo, v8, v10
	v_add_co_ci_u32_e32 v9, vcc_lo, v9, v18, vcc_lo
	s_delay_alu instid0(VALU_DEP_2) | instskip(SKIP_1) | instid1(VALU_DEP_3)
	v_mul_hi_u32 v10, s2, v8
	v_mul_lo_u32 v19, s15, v8
	v_mul_lo_u32 v18, s2, v9
	s_delay_alu instid0(VALU_DEP_1) | instskip(SKIP_1) | instid1(VALU_DEP_2)
	v_add_nc_u32_e32 v10, v10, v18
	v_mul_lo_u32 v18, s2, v8
	v_add_nc_u32_e32 v10, v10, v19
	s_delay_alu instid0(VALU_DEP_2) | instskip(NEXT) | instid1(VALU_DEP_2)
	v_mul_hi_u32 v19, v8, v18
	v_mul_lo_u32 v20, v8, v10
	v_mul_hi_u32 v21, v8, v10
	v_mul_hi_u32 v23, v9, v18
	v_mul_lo_u32 v18, v9, v18
	v_mul_hi_u32 v24, v9, v10
	v_mul_lo_u32 v10, v9, v10
	v_add_co_u32 v19, vcc_lo, v19, v20
	v_add_co_ci_u32_e32 v20, vcc_lo, 0, v21, vcc_lo
	s_delay_alu instid0(VALU_DEP_2) | instskip(NEXT) | instid1(VALU_DEP_2)
	v_add_co_u32 v18, vcc_lo, v19, v18
	v_add_co_ci_u32_e32 v18, vcc_lo, v20, v23, vcc_lo
	v_add_co_ci_u32_e32 v19, vcc_lo, 0, v24, vcc_lo
	v_add_co_u32 v6, vcc_lo, v6, v22
	v_add_co_ci_u32_e32 v7, vcc_lo, v7, v22, vcc_lo
	s_delay_alu instid0(VALU_DEP_4) | instskip(NEXT) | instid1(VALU_DEP_4)
	v_add_co_u32 v10, vcc_lo, v18, v10
	v_add_co_ci_u32_e32 v18, vcc_lo, 0, v19, vcc_lo
	s_delay_alu instid0(VALU_DEP_4) | instskip(NEXT) | instid1(VALU_DEP_3)
	v_xor_b32_e32 v20, v6, v22
	v_add_co_u32 v10, vcc_lo, v8, v10
	s_delay_alu instid0(VALU_DEP_3) | instskip(SKIP_1) | instid1(VALU_DEP_3)
	v_add_co_ci_u32_e32 v21, vcc_lo, v9, v18, vcc_lo
	v_xor_b32_e32 v23, v7, v22
	v_mul_hi_u32 v24, v20, v10
	s_delay_alu instid0(VALU_DEP_3) | instskip(NEXT) | instid1(VALU_DEP_3)
	v_mad_u64_u32 v[6:7], null, v20, v21, 0
	v_mad_u64_u32 v[8:9], null, v23, v10, 0
	;; [unrolled: 1-line block ×3, first 2 shown]
	s_delay_alu instid0(VALU_DEP_3) | instskip(NEXT) | instid1(VALU_DEP_4)
	v_add_co_u32 v6, vcc_lo, v24, v6
	v_add_co_ci_u32_e32 v7, vcc_lo, 0, v7, vcc_lo
	s_delay_alu instid0(VALU_DEP_2) | instskip(NEXT) | instid1(VALU_DEP_2)
	v_add_co_u32 v6, vcc_lo, v6, v8
	v_add_co_ci_u32_e32 v6, vcc_lo, v7, v9, vcc_lo
	v_add_co_ci_u32_e32 v7, vcc_lo, 0, v19, vcc_lo
	s_delay_alu instid0(VALU_DEP_2) | instskip(NEXT) | instid1(VALU_DEP_2)
	v_add_co_u32 v8, vcc_lo, v6, v18
	v_add_co_ci_u32_e32 v9, vcc_lo, 0, v7, vcc_lo
	s_delay_alu instid0(VALU_DEP_2) | instskip(SKIP_1) | instid1(VALU_DEP_3)
	v_mul_lo_u32 v10, s17, v8
	v_mad_u64_u32 v[6:7], null, s16, v8, 0
	v_mul_lo_u32 v9, s16, v9
	s_delay_alu instid0(VALU_DEP_2) | instskip(NEXT) | instid1(VALU_DEP_2)
	v_sub_co_u32 v6, vcc_lo, v20, v6
	v_add3_u32 v7, v7, v9, v10
	v_add_co_u32 v10, s2, v8, 2
	s_delay_alu instid0(VALU_DEP_2) | instskip(NEXT) | instid1(VALU_DEP_1)
	v_sub_nc_u32_e32 v9, v23, v7
	v_subrev_co_ci_u32_e64 v9, s2, s17, v9, vcc_lo
	v_sub_co_u32 v18, s2, v6, s16
	v_sub_co_ci_u32_e32 v7, vcc_lo, v23, v7, vcc_lo
	s_delay_alu instid0(VALU_DEP_3) | instskip(NEXT) | instid1(VALU_DEP_3)
	v_subrev_co_ci_u32_e64 v9, s2, 0, v9, s2
	v_cmp_le_u32_e32 vcc_lo, s16, v18
	v_cndmask_b32_e64 v18, 0, -1, vcc_lo
	s_delay_alu instid0(VALU_DEP_3)
	v_cmp_le_u32_e32 vcc_lo, s17, v9
	v_cndmask_b32_e64 v19, 0, -1, vcc_lo
	v_cmp_le_u32_e32 vcc_lo, s16, v6
	v_cndmask_b32_e64 v6, 0, -1, vcc_lo
	;; [unrolled: 2-line block ×3, first 2 shown]
	v_cmp_eq_u32_e32 vcc_lo, s17, v9
	v_cndmask_b32_e32 v9, v19, v18, vcc_lo
	v_add_co_u32 v18, vcc_lo, v8, 1
	v_cmp_eq_u32_e32 vcc_lo, s17, v7
	v_cndmask_b32_e32 v6, v20, v6, vcc_lo
	s_delay_alu instid0(VALU_DEP_4) | instskip(NEXT) | instid1(VALU_DEP_4)
	v_cmp_ne_u32_e32 vcc_lo, 0, v9
	v_cndmask_b32_e32 v7, v18, v10, vcc_lo
	s_delay_alu instid0(VALU_DEP_3) | instskip(NEXT) | instid1(VALU_DEP_2)
	v_cmp_ne_u32_e32 vcc_lo, 0, v6
	v_cndmask_b32_e32 v6, v8, v7, vcc_lo
	v_xor_b32_e32 v7, s14, v22
	s_delay_alu instid0(VALU_DEP_1) | instskip(NEXT) | instid1(VALU_DEP_1)
	v_xor_b32_e32 v6, v6, v7
	v_sub_co_u32 v8, vcc_lo, v6, v7
                                        ; implicit-def: $vgpr6_vgpr7
.LBB7_13:                               ;   in Loop: Header=BB7_11 Depth=2
	s_and_not1_saveexec_b32 s2, s3
	s_cbranch_execz .LBB7_15
; %bb.14:                               ;   in Loop: Header=BB7_11 Depth=2
	v_cvt_f32_u32_e32 v7, s28
	s_sub_i32 s3, 0, s28
	s_delay_alu instid0(VALU_DEP_1) | instskip(SKIP_2) | instid1(VALU_DEP_1)
	v_rcp_iflag_f32_e32 v7, v7
	s_waitcnt_depctr 0xfff
	v_mul_f32_e32 v7, 0x4f7ffffe, v7
	v_cvt_u32_f32_e32 v7, v7
	s_delay_alu instid0(VALU_DEP_1) | instskip(NEXT) | instid1(VALU_DEP_1)
	v_mul_lo_u32 v8, s3, v7
	v_mul_hi_u32 v8, v7, v8
	s_delay_alu instid0(VALU_DEP_1) | instskip(NEXT) | instid1(VALU_DEP_1)
	v_add_nc_u32_e32 v7, v7, v8
	v_mul_hi_u32 v7, v6, v7
	s_delay_alu instid0(VALU_DEP_1) | instskip(NEXT) | instid1(VALU_DEP_1)
	v_mul_lo_u32 v8, v7, s28
	v_sub_nc_u32_e32 v6, v6, v8
	v_add_nc_u32_e32 v8, 1, v7
	s_delay_alu instid0(VALU_DEP_2) | instskip(SKIP_1) | instid1(VALU_DEP_2)
	v_subrev_nc_u32_e32 v9, s28, v6
	v_cmp_le_u32_e32 vcc_lo, s28, v6
	v_dual_cndmask_b32 v6, v6, v9 :: v_dual_cndmask_b32 v7, v7, v8
	s_delay_alu instid0(VALU_DEP_1) | instskip(NEXT) | instid1(VALU_DEP_2)
	v_cmp_le_u32_e32 vcc_lo, s28, v6
	v_add_nc_u32_e32 v8, 1, v7
	s_delay_alu instid0(VALU_DEP_1)
	v_cndmask_b32_e32 v8, v7, v8, vcc_lo
.LBB7_15:                               ;   in Loop: Header=BB7_11 Depth=2
	s_or_b32 exec_lo, exec_lo, s2
	v_mul_lo_u32 v6, v2, s5
	v_mul_hi_u32 v9, v2, v12
	s_delay_alu instid0(VALU_DEP_2) | instskip(NEXT) | instid1(VALU_DEP_2)
	v_sub_nc_u32_e32 v7, 0, v6
	v_mul_lo_u32 v18, v9, s22
	v_add_nc_u32_e32 v20, 1, v9
	s_delay_alu instid0(VALU_DEP_3) | instskip(SKIP_1) | instid1(VALU_DEP_4)
	v_max_i32_e32 v7, v6, v7
	v_ashrrev_i32_e32 v6, 31, v6
	v_sub_nc_u32_e32 v18, v2, v18
	s_delay_alu instid0(VALU_DEP_3) | instskip(NEXT) | instid1(VALU_DEP_3)
	v_mul_hi_u32 v10, v7, v12
	v_xor_b32_e32 v6, s26, v6
	s_delay_alu instid0(VALU_DEP_3) | instskip(NEXT) | instid1(VALU_DEP_3)
	v_cmp_le_u32_e32 vcc_lo, s22, v18
	v_mul_lo_u32 v19, v10, s22
	v_cndmask_b32_e32 v9, v9, v20, vcc_lo
	v_subrev_nc_u32_e32 v20, s22, v18
	s_delay_alu instid0(VALU_DEP_1) | instskip(NEXT) | instid1(VALU_DEP_4)
	v_cndmask_b32_e32 v18, v18, v20, vcc_lo
	v_sub_nc_u32_e32 v7, v7, v19
	v_add_nc_u32_e32 v19, 1, v10
	s_delay_alu instid0(VALU_DEP_3) | instskip(NEXT) | instid1(VALU_DEP_3)
	v_cmp_le_u32_e32 vcc_lo, s22, v18
	v_cmp_le_u32_e64 s2, s22, v7
	v_subrev_nc_u32_e32 v21, s22, v7
	s_delay_alu instid0(VALU_DEP_2) | instskip(NEXT) | instid1(VALU_DEP_2)
	v_cndmask_b32_e64 v10, v10, v19, s2
	v_cndmask_b32_e64 v7, v7, v21, s2
	s_delay_alu instid0(VALU_DEP_2) | instskip(SKIP_1) | instid1(VALU_DEP_1)
	v_add_nc_u32_e32 v20, 1, v10
	v_add_nc_u32_e32 v19, 1, v9
	v_cndmask_b32_e32 v9, v9, v19, vcc_lo
	s_delay_alu instid0(VALU_DEP_4) | instskip(NEXT) | instid1(VALU_DEP_2)
	v_cmp_le_u32_e32 vcc_lo, s22, v7
	v_xor_b32_e32 v9, s26, v9
	v_cndmask_b32_e32 v7, v10, v20, vcc_lo
	s_delay_alu instid0(VALU_DEP_2) | instskip(NEXT) | instid1(VALU_DEP_2)
	v_subrev_nc_u32_e32 v18, s26, v9
	v_xor_b32_e32 v7, v7, v6
	s_delay_alu instid0(VALU_DEP_1) | instskip(NEXT) | instid1(VALU_DEP_1)
	v_sub_nc_u32_e32 v6, v7, v6
	v_mad_u64_u32 v[9:10], null, v18, s5, v[6:7]
	v_mov_b32_e32 v18, 0
	s_delay_alu instid0(VALU_DEP_2) | instskip(NEXT) | instid1(VALU_DEP_1)
	v_sub_nc_u32_e32 v8, v8, v9
	v_add_nc_u32_e32 v10, 1, v8
	s_and_saveexec_b32 s14, s1
	s_cbranch_execz .LBB7_10
; %bb.16:                               ;   in Loop: Header=BB7_11 Depth=2
	v_ashrrev_i32_e32 v18, 31, v9
	v_mad_u64_u32 v[6:7], null, s12, v9, v[4:5]
	v_mul_lo_u32 v9, s13, v9
	v_cmp_gt_u32_e32 vcc_lo, 0x7fffffff, v8
	s_delay_alu instid0(VALU_DEP_4) | instskip(SKIP_3) | instid1(VALU_DEP_2)
	v_mul_lo_u32 v18, s12, v18
	v_max_i32_e32 v19, 1, v10
	s_mov_b32 s15, 0
	s_mov_b32 s16, 0
	v_add3_u32 v7, v9, v7, v18
	v_mov_b32_e32 v18, 0
	s_set_inst_prefetch_distance 0x1
	s_branch .LBB7_18
	.p2align	6
.LBB7_17:                               ;   in Loop: Header=BB7_18 Depth=3
	s_or_b32 exec_lo, exec_lo, s17
	s_add_i32 s16, s16, 1
	v_add_co_u32 v6, s3, v6, s10
	v_cmp_eq_u32_e64 s2, s16, v17
	v_add_co_ci_u32_e64 v7, s3, s11, v7, s3
	s_delay_alu instid0(VALU_DEP_2) | instskip(NEXT) | instid1(SALU_CYCLE_1)
	s_or_b32 s15, s2, s15
	s_and_not1_b32 exec_lo, exec_lo, s15
	s_cbranch_execz .LBB7_9
.LBB7_18:                               ;   Parent Loop BB7_3 Depth=1
                                        ;     Parent Loop BB7_11 Depth=2
                                        ; =>    This Loop Header: Depth=3
                                        ;         Child Loop BB7_20 Depth 4
	s_and_saveexec_b32 s17, vcc_lo
	s_cbranch_execz .LBB7_17
; %bb.19:                               ;   in Loop: Header=BB7_18 Depth=3
	v_dual_mov_b32 v9, v7 :: v_dual_mov_b32 v8, v6
	v_mov_b32_e32 v20, v19
	s_mov_b32 s34, 0
.LBB7_20:                               ;   Parent Loop BB7_3 Depth=1
                                        ;     Parent Loop BB7_11 Depth=2
                                        ;       Parent Loop BB7_18 Depth=3
                                        ; =>      This Inner Loop Header: Depth=4
	global_load_u16 v21, v[8:9], off
	v_add_nc_u32_e32 v20, -1, v20
	v_add_co_u32 v8, s2, v8, s12
	s_delay_alu instid0(VALU_DEP_1) | instskip(NEXT) | instid1(VALU_DEP_3)
	v_add_co_ci_u32_e64 v9, s2, s13, v9, s2
	v_cmp_eq_u32_e64 s3, 0, v20
	s_delay_alu instid0(VALU_DEP_1) | instskip(SKIP_2) | instid1(VALU_DEP_1)
	s_or_b32 s34, s3, s34
	s_waitcnt vmcnt(0)
	v_lshlrev_b32_e32 v21, 16, v21
	v_add_f32_e32 v18, v18, v21
	s_and_not1_b32 exec_lo, exec_lo, s34
	s_cbranch_execnz .LBB7_20
; %bb.21:                               ;   in Loop: Header=BB7_18 Depth=3
	s_or_b32 exec_lo, exec_lo, s34
	s_branch .LBB7_17
.LBB7_22:
	s_nop 0
	s_sendmsg sendmsg(MSG_DEALLOC_VGPRS)
	s_endpgm
	.section	.rodata,"a",@progbits
	.p2align	6, 0x0
	.amdhsa_kernel _ZN2at6native12_GLOBAL__N_121adaptive_average_poolIN3c108BFloat16EEEvPKT_PS5_iiiilll
		.amdhsa_group_segment_fixed_size 0
		.amdhsa_private_segment_fixed_size 0
		.amdhsa_kernarg_size 312
		.amdhsa_user_sgpr_count 14
		.amdhsa_user_sgpr_dispatch_ptr 0
		.amdhsa_user_sgpr_queue_ptr 0
		.amdhsa_user_sgpr_kernarg_segment_ptr 1
		.amdhsa_user_sgpr_dispatch_id 0
		.amdhsa_user_sgpr_private_segment_size 0
		.amdhsa_wavefront_size32 1
		.amdhsa_uses_dynamic_stack 0
		.amdhsa_enable_private_segment 0
		.amdhsa_system_sgpr_workgroup_id_x 1
		.amdhsa_system_sgpr_workgroup_id_y 1
		.amdhsa_system_sgpr_workgroup_id_z 0
		.amdhsa_system_sgpr_workgroup_info 0
		.amdhsa_system_vgpr_workitem_id 1
		.amdhsa_next_free_vgpr 25
		.amdhsa_next_free_sgpr 36
		.amdhsa_reserve_vcc 1
		.amdhsa_float_round_mode_32 0
		.amdhsa_float_round_mode_16_64 0
		.amdhsa_float_denorm_mode_32 3
		.amdhsa_float_denorm_mode_16_64 3
		.amdhsa_dx10_clamp 1
		.amdhsa_ieee_mode 1
		.amdhsa_fp16_overflow 0
		.amdhsa_workgroup_processor_mode 1
		.amdhsa_memory_ordered 1
		.amdhsa_forward_progress 0
		.amdhsa_shared_vgpr_count 0
		.amdhsa_exception_fp_ieee_invalid_op 0
		.amdhsa_exception_fp_denorm_src 0
		.amdhsa_exception_fp_ieee_div_zero 0
		.amdhsa_exception_fp_ieee_overflow 0
		.amdhsa_exception_fp_ieee_underflow 0
		.amdhsa_exception_fp_ieee_inexact 0
		.amdhsa_exception_int_div_zero 0
	.end_amdhsa_kernel
	.section	.text._ZN2at6native12_GLOBAL__N_121adaptive_average_poolIN3c108BFloat16EEEvPKT_PS5_iiiilll,"axG",@progbits,_ZN2at6native12_GLOBAL__N_121adaptive_average_poolIN3c108BFloat16EEEvPKT_PS5_iiiilll,comdat
.Lfunc_end7:
	.size	_ZN2at6native12_GLOBAL__N_121adaptive_average_poolIN3c108BFloat16EEEvPKT_PS5_iiiilll, .Lfunc_end7-_ZN2at6native12_GLOBAL__N_121adaptive_average_poolIN3c108BFloat16EEEvPKT_PS5_iiiilll
                                        ; -- End function
	.section	.AMDGPU.csdata,"",@progbits
; Kernel info:
; codeLenInByte = 3468
; NumSgprs: 38
; NumVgprs: 25
; ScratchSize: 0
; MemoryBound: 0
; FloatMode: 240
; IeeeMode: 1
; LDSByteSize: 0 bytes/workgroup (compile time only)
; SGPRBlocks: 4
; VGPRBlocks: 3
; NumSGPRsForWavesPerEU: 38
; NumVGPRsForWavesPerEU: 25
; Occupancy: 16
; WaveLimiterHint : 0
; COMPUTE_PGM_RSRC2:SCRATCH_EN: 0
; COMPUTE_PGM_RSRC2:USER_SGPR: 14
; COMPUTE_PGM_RSRC2:TRAP_HANDLER: 0
; COMPUTE_PGM_RSRC2:TGID_X_EN: 1
; COMPUTE_PGM_RSRC2:TGID_Y_EN: 1
; COMPUTE_PGM_RSRC2:TGID_Z_EN: 0
; COMPUTE_PGM_RSRC2:TIDIG_COMP_CNT: 1
	.section	.text._ZN2at6native12_GLOBAL__N_131adaptive_average_gradinput_nhwcIidEEvPT0_PKS3_iiiiiiiiT_S7_S7_S7_,"axG",@progbits,_ZN2at6native12_GLOBAL__N_131adaptive_average_gradinput_nhwcIidEEvPT0_PKS3_iiiiiiiiT_S7_S7_S7_,comdat
	.globl	_ZN2at6native12_GLOBAL__N_131adaptive_average_gradinput_nhwcIidEEvPT0_PKS3_iiiiiiiiT_S7_S7_S7_ ; -- Begin function _ZN2at6native12_GLOBAL__N_131adaptive_average_gradinput_nhwcIidEEvPT0_PKS3_iiiiiiiiT_S7_S7_S7_
	.p2align	8
	.type	_ZN2at6native12_GLOBAL__N_131adaptive_average_gradinput_nhwcIidEEvPT0_PKS3_iiiiiiiiT_S7_S7_S7_,@function
_ZN2at6native12_GLOBAL__N_131adaptive_average_gradinput_nhwcIidEEvPT0_PKS3_iiiiiiiiT_S7_S7_S7_: ; @_ZN2at6native12_GLOBAL__N_131adaptive_average_gradinput_nhwcIidEEvPT0_PKS3_iiiiiiiiT_S7_S7_S7_
; %bb.0:
	s_clause 0x3
	s_load_b128 s[20:23], s[0:1], 0x44
	s_load_b256 s[4:11], s[0:1], 0x10
	s_load_b128 s[16:19], s[0:1], 0x30
	s_load_b128 s[24:27], s[0:1], 0x0
	v_bfe_u32 v1, v0, 10, 10
	v_bfe_u32 v2, v0, 20, 10
	v_and_b32_e32 v0, 0x3ff, v0
	s_mov_b32 s3, exec_lo
	s_waitcnt lgkmcnt(0)
	s_lshr_b32 s12, s22, 16
	s_and_b32 s1, s22, 0xffff
	v_mad_u32_u24 v6, v2, s12, v1
	s_and_b32 s22, s23, 0xffff
	s_mul_i32 s2, s12, s1
	s_delay_alu instid0(SALU_CYCLE_1) | instskip(NEXT) | instid1(VALU_DEP_1)
	s_mul_i32 s2, s2, s22
	v_mad_u64_u32 v[3:4], null, v6, s1, v[0:1]
	s_delay_alu instid0(VALU_DEP_1)
	v_cmpx_gt_i32_e64 s7, v3
	s_cbranch_execz .LBB8_3
; %bb.1:
	s_abs_i32 s23, s7
	s_add_i32 s31, s7, s9
	v_cvt_f32_u32_e32 v4, s23
	s_sub_i32 s0, 0, s23
	s_ashr_i32 s28, s7, 31
	s_mov_b32 s29, 0
	s_lshl_b32 s33, s7, 2
	v_rcp_iflag_f32_e32 v4, v4
	s_mov_b32 s34, 0
	s_waitcnt_depctr 0xfff
	v_mul_f32_e32 v4, 0x4f7ffffe, v4
	s_delay_alu instid0(VALU_DEP_1) | instskip(SKIP_1) | instid1(VALU_DEP_2)
	v_cvt_u32_f32_e32 v8, v4
	v_mul_lo_u32 v4, s9, v3
	v_mul_lo_u32 v5, s0, v8
	s_mul_i32 s0, s9, s12
	s_delay_alu instid0(SALU_CYCLE_1) | instskip(NEXT) | instid1(VALU_DEP_2)
	s_mul_i32 s30, s0, s1
	v_add3_u32 v7, s31, v4, -1
	s_mul_i32 s30, s30, s22
	s_lshl_b32 s31, s2, 2
	s_delay_alu instid0(VALU_DEP_2) | instskip(SKIP_1) | instid1(VALU_DEP_2)
	v_mul_hi_u32 v9, v8, v5
	v_lshl_add_u32 v5, v3, 2, 0
	v_dual_mov_b32 v9, v3 :: v_dual_add_nc_u32 v8, v8, v9
.LBB8_2:                                ; =>This Inner Loop Header: Depth=1
	v_add_nc_u32_e32 v10, s34, v4
	s_delay_alu instid0(VALU_DEP_2) | instskip(NEXT) | instid1(VALU_DEP_2)
	v_add_nc_u32_e32 v9, s2, v9
	v_sub_nc_u32_e32 v12, 0, v10
	v_ashrrev_i32_e32 v13, 31, v10
	s_delay_alu instid0(VALU_DEP_2) | instskip(NEXT) | instid1(VALU_DEP_2)
	v_max_i32_e32 v10, v10, v12
	v_xor_b32_e32 v12, s28, v13
	s_delay_alu instid0(VALU_DEP_2) | instskip(NEXT) | instid1(VALU_DEP_1)
	v_mul_hi_u32 v13, v10, v8
	v_mul_lo_u32 v16, v13, s23
	v_add_nc_u32_e32 v18, 1, v13
	s_delay_alu instid0(VALU_DEP_2) | instskip(NEXT) | instid1(VALU_DEP_1)
	v_sub_nc_u32_e32 v10, v10, v16
	v_subrev_nc_u32_e32 v16, s23, v10
	v_cmp_le_u32_e32 vcc_lo, s23, v10
	v_add_nc_u32_e32 v11, s34, v7
	s_add_i32 s34, s34, s30
	s_delay_alu instid0(VALU_DEP_3) | instskip(NEXT) | instid1(VALU_DEP_2)
	v_cndmask_b32_e32 v10, v10, v16, vcc_lo
	v_sub_nc_u32_e32 v14, 0, v11
	v_ashrrev_i32_e32 v15, 31, v11
	v_cndmask_b32_e32 v13, v13, v18, vcc_lo
	s_delay_alu instid0(VALU_DEP_4) | instskip(NEXT) | instid1(VALU_DEP_4)
	v_cmp_le_u32_e32 vcc_lo, s23, v10
	v_max_i32_e32 v11, v11, v14
	s_delay_alu instid0(VALU_DEP_3) | instskip(NEXT) | instid1(VALU_DEP_2)
	v_add_nc_u32_e32 v16, 1, v13
	v_mul_hi_u32 v14, v11, v8
	s_delay_alu instid0(VALU_DEP_2) | instskip(SKIP_1) | instid1(VALU_DEP_2)
	v_cndmask_b32_e32 v10, v13, v16, vcc_lo
	v_xor_b32_e32 v13, s28, v15
	v_xor_b32_e32 v10, v10, v12
	s_delay_alu instid0(VALU_DEP_4) | instskip(SKIP_1) | instid1(VALU_DEP_3)
	v_mul_lo_u32 v17, v14, s23
	v_add_nc_u32_e32 v19, 1, v14
	v_sub_nc_u32_e32 v10, v10, v12
	v_add_nc_u32_e32 v12, s33, v5
	s_delay_alu instid0(VALU_DEP_4) | instskip(SKIP_4) | instid1(VALU_DEP_1)
	v_sub_nc_u32_e32 v11, v11, v17
	ds_store_b32 v5, v10
	v_add_nc_u32_e32 v5, s31, v5
	v_subrev_nc_u32_e32 v17, s23, v11
	v_cmp_le_u32_e64 s0, s23, v11
	v_cndmask_b32_e64 v14, v14, v19, s0
	s_delay_alu instid0(VALU_DEP_3) | instskip(NEXT) | instid1(VALU_DEP_2)
	v_cndmask_b32_e64 v11, v11, v17, s0
	v_add_nc_u32_e32 v17, 1, v14
	s_delay_alu instid0(VALU_DEP_2) | instskip(NEXT) | instid1(VALU_DEP_2)
	v_cmp_le_u32_e32 vcc_lo, s23, v11
	v_cndmask_b32_e32 v11, v14, v17, vcc_lo
	v_cmp_le_i32_e32 vcc_lo, s7, v9
	s_delay_alu instid0(VALU_DEP_2) | instskip(SKIP_1) | instid1(VALU_DEP_1)
	v_xor_b32_e32 v11, v11, v13
	s_or_b32 s29, vcc_lo, s29
	v_sub_nc_u32_e32 v11, v11, v13
	ds_store_b32 v12, v11
	s_and_not1_b32 exec_lo, exec_lo, s29
	s_cbranch_execnz .LBB8_2
.LBB8_3:
	s_or_b32 exec_lo, exec_lo, s3
	v_lshlrev_b32_e32 v5, 3, v3
	s_mov_b32 s3, exec_lo
	v_cmpx_gt_i32_e64 s8, v3
	s_cbranch_execz .LBB8_6
; %bb.4:
	s_abs_i32 s23, s8
	s_lshl_b32 s30, s9, 3
	v_cvt_f32_u32_e32 v4, s23
	s_sub_i32 s0, 0, s23
	s_lshl_b32 s31, s7, 3
	s_add_i32 s33, s8, s6
	s_add_i32 s30, s30, s31
	v_rcp_iflag_f32_e32 v4, v4
	s_ashr_i32 s28, s8, 31
	s_mov_b32 s29, 0
	s_lshl_b32 s31, s2, 3
	s_waitcnt_depctr 0xfff
	v_mul_f32_e32 v4, 0x4f7ffffe, v4
	s_delay_alu instid0(VALU_DEP_1) | instskip(SKIP_1) | instid1(VALU_DEP_2)
	v_cvt_u32_f32_e32 v9, v4
	v_mul_lo_u32 v4, s6, v3
	v_mul_lo_u32 v7, s0, v9
	s_mul_i32 s0, s6, s12
	s_delay_alu instid0(SALU_CYCLE_1) | instskip(NEXT) | instid1(VALU_DEP_2)
	s_mul_i32 s0, s0, s1
	v_add3_u32 v8, s33, v4, -1
	s_mov_b32 s33, 0
	s_delay_alu instid0(VALU_DEP_2) | instskip(SKIP_2) | instid1(VALU_DEP_2)
	v_mul_hi_u32 v10, v9, v7
	v_add3_u32 v7, 0, s30, v5
	s_mul_i32 s30, s0, s22
	v_dual_mov_b32 v10, v3 :: v_dual_add_nc_u32 v9, v9, v10
.LBB8_5:                                ; =>This Inner Loop Header: Depth=1
	v_add_nc_u32_e32 v11, s33, v8
	s_delay_alu instid0(VALU_DEP_2) | instskip(NEXT) | instid1(VALU_DEP_2)
	v_add_nc_u32_e32 v10, s2, v10
	v_sub_nc_u32_e32 v13, 0, v11
	v_ashrrev_i32_e32 v14, 31, v11
	s_delay_alu instid0(VALU_DEP_2) | instskip(NEXT) | instid1(VALU_DEP_2)
	v_max_i32_e32 v11, v11, v13
	v_xor_b32_e32 v13, s28, v14
	s_delay_alu instid0(VALU_DEP_2) | instskip(NEXT) | instid1(VALU_DEP_1)
	v_mul_hi_u32 v14, v11, v9
	v_mul_lo_u32 v17, v14, s23
	v_add_nc_u32_e32 v19, 1, v14
	s_delay_alu instid0(VALU_DEP_2) | instskip(NEXT) | instid1(VALU_DEP_1)
	v_sub_nc_u32_e32 v11, v11, v17
	v_cmp_le_u32_e32 vcc_lo, s23, v11
	v_subrev_nc_u32_e32 v17, s23, v11
	v_add_nc_u32_e32 v12, s33, v4
	s_add_i32 s33, s33, s30
	s_delay_alu instid0(VALU_DEP_2) | instskip(NEXT) | instid1(VALU_DEP_2)
	v_dual_cndmask_b32 v14, v14, v19 :: v_dual_cndmask_b32 v11, v11, v17
	v_sub_nc_u32_e32 v15, 0, v12
	v_ashrrev_i32_e32 v16, 31, v12
	s_delay_alu instid0(VALU_DEP_3) | instskip(NEXT) | instid1(VALU_DEP_4)
	v_add_nc_u32_e32 v17, 1, v14
	v_cmp_le_u32_e32 vcc_lo, s23, v11
	s_delay_alu instid0(VALU_DEP_4) | instskip(NEXT) | instid1(VALU_DEP_4)
	v_max_i32_e32 v12, v12, v15
	v_xor_b32_e32 v16, s28, v16
	s_delay_alu instid0(VALU_DEP_4) | instskip(NEXT) | instid1(VALU_DEP_3)
	v_cndmask_b32_e32 v11, v14, v17, vcc_lo
	v_mul_hi_u32 v15, v12, v9
	s_delay_alu instid0(VALU_DEP_2) | instskip(NEXT) | instid1(VALU_DEP_2)
	v_xor_b32_e32 v11, v11, v13
	v_mul_lo_u32 v18, v15, s23
	v_add_nc_u32_e32 v20, 1, v15
	s_delay_alu instid0(VALU_DEP_3) | instskip(NEXT) | instid1(VALU_DEP_3)
	v_sub_nc_u32_e32 v11, v11, v13
	v_sub_nc_u32_e32 v12, v12, v18
	s_delay_alu instid0(VALU_DEP_1) | instskip(SKIP_1) | instid1(VALU_DEP_1)
	v_subrev_nc_u32_e32 v18, s23, v12
	v_cmp_le_u32_e64 s0, s23, v12
	v_cndmask_b32_e64 v15, v15, v20, s0
	s_delay_alu instid0(VALU_DEP_3) | instskip(NEXT) | instid1(VALU_DEP_2)
	v_cndmask_b32_e64 v12, v12, v18, s0
	v_add_nc_u32_e32 v18, 1, v15
	s_delay_alu instid0(VALU_DEP_2) | instskip(NEXT) | instid1(VALU_DEP_2)
	v_cmp_le_u32_e32 vcc_lo, s23, v12
	v_cndmask_b32_e32 v12, v15, v18, vcc_lo
	s_delay_alu instid0(VALU_DEP_1) | instskip(NEXT) | instid1(VALU_DEP_1)
	v_xor_b32_e32 v12, v12, v16
	v_sub_nc_u32_e32 v12, v16, v12
	s_delay_alu instid0(VALU_DEP_1) | instskip(NEXT) | instid1(VALU_DEP_1)
	v_add_nc_u32_e32 v11, v11, v12
	v_cvt_f64_i32_e32 v[11:12], v11
	s_delay_alu instid0(VALU_DEP_1) | instskip(SKIP_1) | instid1(VALU_DEP_2)
	v_div_scale_f64 v[13:14], null, v[11:12], v[11:12], 1.0
	v_div_scale_f64 v[19:20], vcc_lo, 1.0, v[11:12], 1.0
	v_rcp_f64_e32 v[15:16], v[13:14]
	s_waitcnt_depctr 0xfff
	v_fma_f64 v[17:18], -v[13:14], v[15:16], 1.0
	s_delay_alu instid0(VALU_DEP_1) | instskip(NEXT) | instid1(VALU_DEP_1)
	v_fma_f64 v[15:16], v[15:16], v[17:18], v[15:16]
	v_fma_f64 v[17:18], -v[13:14], v[15:16], 1.0
	s_delay_alu instid0(VALU_DEP_1) | instskip(NEXT) | instid1(VALU_DEP_1)
	v_fma_f64 v[15:16], v[15:16], v[17:18], v[15:16]
	v_mul_f64 v[17:18], v[19:20], v[15:16]
	s_delay_alu instid0(VALU_DEP_1) | instskip(NEXT) | instid1(VALU_DEP_1)
	v_fma_f64 v[13:14], -v[13:14], v[17:18], v[19:20]
	v_div_fmas_f64 v[13:14], v[13:14], v[15:16], v[17:18]
	v_cmp_le_i32_e32 vcc_lo, s8, v10
	s_or_b32 s29, vcc_lo, s29
	s_delay_alu instid0(VALU_DEP_2)
	v_div_fixup_f64 v[11:12], v[13:14], v[11:12], 1.0
	ds_store_b64 v7, v[11:12]
	v_add_nc_u32_e32 v7, s31, v7
	s_and_not1_b32 exec_lo, exec_lo, s29
	s_cbranch_execnz .LBB8_5
.LBB8_6:
	s_or_b32 exec_lo, exec_lo, s3
	s_delay_alu instid0(SALU_CYCLE_1)
	s_mov_b32 s3, exec_lo
	v_cmpx_gt_i32_e64 s9, v3
	s_cbranch_execz .LBB8_9
; %bb.7:
	s_abs_i32 s23, s9
	s_add_i32 s30, s9, s7
	v_cvt_f32_u32_e32 v4, s23
	s_sub_i32 s0, 0, s23
	s_lshl_b32 s31, s7, 3
	s_ashr_i32 s28, s9, 31
	s_mov_b32 s29, 0
	v_rcp_iflag_f32_e32 v4, v4
	s_mov_b32 s33, 0
	s_waitcnt_depctr 0xfff
	v_mul_f32_e32 v4, 0x4f7ffffe, v4
	s_delay_alu instid0(VALU_DEP_1) | instskip(SKIP_1) | instid1(VALU_DEP_2)
	v_cvt_u32_f32_e32 v9, v4
	v_mul_lo_u32 v4, s7, v3
	v_mul_lo_u32 v7, s0, v9
	s_mul_i32 s0, s7, s12
	s_delay_alu instid0(SALU_CYCLE_1) | instskip(NEXT) | instid1(VALU_DEP_2)
	s_mul_i32 s0, s0, s1
	v_add3_u32 v8, s30, v4, -1
	s_mul_i32 s30, s0, s22
	s_delay_alu instid0(VALU_DEP_2) | instskip(SKIP_2) | instid1(VALU_DEP_2)
	v_mul_hi_u32 v10, v9, v7
	v_add3_u32 v7, 0, s31, v5
	s_lshl_b32 s31, s2, 3
	v_dual_mov_b32 v10, v3 :: v_dual_add_nc_u32 v9, v9, v10
.LBB8_8:                                ; =>This Inner Loop Header: Depth=1
	v_add_nc_u32_e32 v11, s33, v8
	s_delay_alu instid0(VALU_DEP_2) | instskip(NEXT) | instid1(VALU_DEP_2)
	v_add_nc_u32_e32 v10, s2, v10
	v_sub_nc_u32_e32 v13, 0, v11
	v_ashrrev_i32_e32 v14, 31, v11
	s_delay_alu instid0(VALU_DEP_2) | instskip(NEXT) | instid1(VALU_DEP_2)
	v_max_i32_e32 v11, v11, v13
	v_xor_b32_e32 v13, s28, v14
	s_delay_alu instid0(VALU_DEP_2) | instskip(NEXT) | instid1(VALU_DEP_1)
	v_mul_hi_u32 v14, v11, v9
	v_mul_lo_u32 v17, v14, s23
	v_add_nc_u32_e32 v19, 1, v14
	s_delay_alu instid0(VALU_DEP_2) | instskip(NEXT) | instid1(VALU_DEP_1)
	v_sub_nc_u32_e32 v11, v11, v17
	v_cmp_le_u32_e32 vcc_lo, s23, v11
	v_subrev_nc_u32_e32 v17, s23, v11
	v_add_nc_u32_e32 v12, s33, v4
	s_add_i32 s33, s33, s30
	s_delay_alu instid0(VALU_DEP_2) | instskip(NEXT) | instid1(VALU_DEP_2)
	v_dual_cndmask_b32 v14, v14, v19 :: v_dual_cndmask_b32 v11, v11, v17
	v_sub_nc_u32_e32 v15, 0, v12
	v_ashrrev_i32_e32 v16, 31, v12
	s_delay_alu instid0(VALU_DEP_3) | instskip(NEXT) | instid1(VALU_DEP_4)
	v_add_nc_u32_e32 v17, 1, v14
	v_cmp_le_u32_e32 vcc_lo, s23, v11
	s_delay_alu instid0(VALU_DEP_4) | instskip(NEXT) | instid1(VALU_DEP_4)
	v_max_i32_e32 v12, v12, v15
	v_xor_b32_e32 v16, s28, v16
	s_delay_alu instid0(VALU_DEP_4) | instskip(NEXT) | instid1(VALU_DEP_3)
	v_cndmask_b32_e32 v11, v14, v17, vcc_lo
	v_mul_hi_u32 v15, v12, v9
	s_delay_alu instid0(VALU_DEP_2) | instskip(NEXT) | instid1(VALU_DEP_2)
	v_xor_b32_e32 v11, v11, v13
	v_mul_lo_u32 v18, v15, s23
	v_add_nc_u32_e32 v20, 1, v15
	s_delay_alu instid0(VALU_DEP_3) | instskip(NEXT) | instid1(VALU_DEP_3)
	v_sub_nc_u32_e32 v11, v11, v13
	v_sub_nc_u32_e32 v12, v12, v18
	s_delay_alu instid0(VALU_DEP_1) | instskip(SKIP_1) | instid1(VALU_DEP_1)
	v_subrev_nc_u32_e32 v18, s23, v12
	v_cmp_le_u32_e64 s0, s23, v12
	v_cndmask_b32_e64 v15, v15, v20, s0
	s_delay_alu instid0(VALU_DEP_3) | instskip(NEXT) | instid1(VALU_DEP_2)
	v_cndmask_b32_e64 v12, v12, v18, s0
	v_add_nc_u32_e32 v18, 1, v15
	s_delay_alu instid0(VALU_DEP_2) | instskip(NEXT) | instid1(VALU_DEP_2)
	v_cmp_le_u32_e32 vcc_lo, s23, v12
	v_cndmask_b32_e32 v12, v15, v18, vcc_lo
	s_delay_alu instid0(VALU_DEP_1) | instskip(NEXT) | instid1(VALU_DEP_1)
	v_xor_b32_e32 v12, v12, v16
	v_sub_nc_u32_e32 v12, v16, v12
	s_delay_alu instid0(VALU_DEP_1) | instskip(NEXT) | instid1(VALU_DEP_1)
	v_add_nc_u32_e32 v11, v11, v12
	v_cvt_f64_i32_e32 v[11:12], v11
	s_delay_alu instid0(VALU_DEP_1) | instskip(SKIP_1) | instid1(VALU_DEP_2)
	v_div_scale_f64 v[13:14], null, v[11:12], v[11:12], 1.0
	v_div_scale_f64 v[19:20], vcc_lo, 1.0, v[11:12], 1.0
	v_rcp_f64_e32 v[15:16], v[13:14]
	s_waitcnt_depctr 0xfff
	v_fma_f64 v[17:18], -v[13:14], v[15:16], 1.0
	s_delay_alu instid0(VALU_DEP_1) | instskip(NEXT) | instid1(VALU_DEP_1)
	v_fma_f64 v[15:16], v[15:16], v[17:18], v[15:16]
	v_fma_f64 v[17:18], -v[13:14], v[15:16], 1.0
	s_delay_alu instid0(VALU_DEP_1) | instskip(NEXT) | instid1(VALU_DEP_1)
	v_fma_f64 v[15:16], v[15:16], v[17:18], v[15:16]
	v_mul_f64 v[17:18], v[19:20], v[15:16]
	s_delay_alu instid0(VALU_DEP_1) | instskip(NEXT) | instid1(VALU_DEP_1)
	v_fma_f64 v[13:14], -v[13:14], v[17:18], v[19:20]
	v_div_fmas_f64 v[13:14], v[13:14], v[15:16], v[17:18]
	v_cmp_le_i32_e32 vcc_lo, s9, v10
	s_or_b32 s29, vcc_lo, s29
	s_delay_alu instid0(VALU_DEP_2)
	v_div_fixup_f64 v[11:12], v[13:14], v[11:12], 1.0
	ds_store_b64 v7, v[11:12]
	v_add_nc_u32_e32 v7, s31, v7
	s_and_not1_b32 exec_lo, exec_lo, s29
	s_cbranch_execnz .LBB8_8
.LBB8_9:
	s_or_b32 exec_lo, exec_lo, s3
	v_cvt_f32_u32_e32 v4, s4
	s_sub_i32 s3, 0, s4
	s_mov_b32 s28, exec_lo
	s_delay_alu instid0(VALU_DEP_1) | instskip(SKIP_2) | instid1(VALU_DEP_1)
	v_rcp_iflag_f32_e32 v4, v4
	s_waitcnt_depctr 0xfff
	v_mul_f32_e32 v4, 0x4f7ffffe, v4
	v_cvt_u32_f32_e32 v4, v4
	s_delay_alu instid0(VALU_DEP_1) | instskip(NEXT) | instid1(VALU_DEP_1)
	v_readfirstlane_b32 s0, v4
	s_mul_i32 s23, s3, s0
	s_mul_i32 s3, s2, s11
	s_mul_hi_u32 s23, s0, s23
	s_delay_alu instid0(SALU_CYCLE_1)
	s_add_i32 s0, s0, s23
	s_mov_b32 s23, 0
	s_mul_hi_u32 s0, s13, s0
	v_cmpx_gt_u32_e64 s3, v3
	s_cbranch_execz .LBB8_12
; %bb.10:
	s_lshl_b32 s29, s9, 3
	s_lshl_b32 s30, s8, 3
	v_mov_b32_e32 v4, 0
	s_add_i32 s29, s29, s30
	s_lshl_b32 s30, s7, 3
	s_delay_alu instid0(SALU_CYCLE_1) | instskip(NEXT) | instid1(SALU_CYCLE_1)
	s_add_i32 s29, s29, s30
	v_add3_u32 v7, 0, s29, v5
	v_mov_b32_e32 v5, v4
	s_lshl_b32 s29, s2, 3
.LBB8_11:                               ; =>This Inner Loop Header: Depth=1
	v_add_nc_u32_e32 v3, s2, v3
	ds_store_b64 v7, v[4:5]
	v_add_nc_u32_e32 v7, s29, v7
	v_cmp_le_u32_e32 vcc_lo, s3, v3
	s_or_b32 s23, vcc_lo, s23
	s_delay_alu instid0(SALU_CYCLE_1)
	s_and_not1_b32 exec_lo, exec_lo, s23
	s_cbranch_execnz .LBB8_11
.LBB8_12:
	s_or_b32 exec_lo, exec_lo, s28
	v_cvt_f32_u32_e32 v3, s21
	s_sub_i32 s3, 0, s21
	s_add_i32 s23, s6, -1
	s_waitcnt lgkmcnt(0)
	s_add_i32 s28, s23, s21
	v_rcp_iflag_f32_e32 v3, v3
	s_barrier
	buffer_gl0_inv
	v_mul_f32_e32 v3, 0x4f7ffffe, v3
	s_delay_alu instid0(VALU_DEP_1) | instskip(NEXT) | instid1(VALU_DEP_1)
	v_cvt_u32_f32_e32 v3, v3
	v_readfirstlane_b32 s2, v3
	v_cvt_f32_u32_e32 v3, s20
	s_delay_alu instid0(VALU_DEP_2) | instskip(NEXT) | instid1(VALU_DEP_1)
	s_mul_i32 s3, s3, s2
	v_rcp_iflag_f32_e32 v5, v3
	s_mul_hi_u32 s3, s2, s3
	s_delay_alu instid0(SALU_CYCLE_1) | instskip(NEXT) | instid1(SALU_CYCLE_1)
	s_add_i32 s2, s2, s3
	s_mul_hi_u32 s2, s28, s2
	s_delay_alu instid0(SALU_CYCLE_1) | instskip(NEXT) | instid1(SALU_CYCLE_1)
	s_mul_i32 s3, s2, s21
	s_sub_i32 s3, s28, s3
	s_add_i32 s28, s2, 1
	s_sub_i32 s29, s3, s21
	s_cmp_ge_u32 s3, s21
	s_cselect_b32 s2, s28, s2
	s_cselect_b32 s3, s29, s3
	s_add_i32 s28, s2, 1
	s_cmp_ge_u32 s3, s21
	s_mov_b32 s3, exec_lo
	s_cselect_b32 s2, s28, s2
	s_delay_alu instid0(SALU_CYCLE_1) | instskip(SKIP_3) | instid1(VALU_DEP_1)
	v_mad_u64_u32 v[3:4], null, s2, s15, v[2:3]
	s_waitcnt_depctr 0xfff
	v_mul_f32_e32 v2, 0x4f7ffffe, v5
	s_mov_b32 s15, 0
	v_cvt_u32_f32_e32 v5, v2
	v_add_nc_u32_e32 v4, s2, v3
	s_delay_alu instid0(VALU_DEP_2) | instskip(NEXT) | instid1(VALU_DEP_2)
	v_readfirstlane_b32 s2, v5
	v_min_i32_e32 v2, s6, v4
	s_delay_alu instid0(VALU_DEP_1)
	v_cmpx_lt_i32_e64 v3, v2
	s_cbranch_execz .LBB8_30
; %bb.13:
	s_sub_i32 s3, 0, s20
	s_add_i32 s21, s7, s20
	s_mul_i32 s3, s3, s2
	s_mul_i32 s28, s0, s4
	s_mul_hi_u32 s3, s2, s3
	s_add_i32 s30, s21, -1
	s_add_i32 s21, s2, s3
	s_sub_i32 s2, s13, s28
	s_add_i32 s3, s0, 1
	s_sub_i32 s28, s2, s4
	s_cmp_ge_u32 s2, s4
	v_mul_lo_u32 v5, s11, v6
	s_cselect_b32 s0, s3, s0
	s_cselect_b32 s2, s28, s2
	s_add_i32 s3, s0, 1
	s_cmp_ge_u32 s2, s4
	s_mul_i32 s2, s6, s5
	s_cselect_b32 s0, s3, s0
	s_mul_i32 s2, s2, s7
	s_mul_i32 s3, s0, s4
	v_mul_lo_u32 v6, v5, s1
	s_sub_i32 s4, s13, s3
	v_lshlrev_b32_e32 v7, 3, v0
	s_mul_i32 s2, s2, s4
	s_mul_i32 s28, s4, s16
	s_ashr_i32 s3, s2, 31
	s_mul_i32 s11, s1, s10
	s_lshl_b64 s[2:3], s[2:3], 3
	s_delay_alu instid0(SALU_CYCLE_1)
	s_add_u32 s4, s24, s2
	s_addc_u32 s13, s25, s3
	s_ashr_i32 s29, s28, 31
	s_mul_hi_u32 s24, s30, s21
	s_lshl_b64 s[2:3], s[28:29], 3
	s_mul_i32 s25, s24, s20
	s_add_u32 s16, s26, s2
	s_addc_u32 s21, s27, s3
	s_sub_i32 s2, s30, s25
	s_add_i32 s3, s24, 1
	s_sub_i32 s25, s2, s20
	s_cmp_ge_u32 s2, s20
	s_cselect_b32 s3, s3, s24
	s_cselect_b32 s2, s25, s2
	s_add_i32 s24, s3, 1
	s_cmp_ge_u32 s2, s20
	s_cselect_b32 s2, s24, s3
	s_abs_i32 s20, s6
	s_mul_i32 s3, s17, s10
	v_cvt_f32_u32_e32 v4, s20
	s_ashr_i32 s6, s6, 31
	s_lshl_b32 s24, s1, 3
	s_delay_alu instid0(VALU_DEP_1)
	v_rcp_iflag_f32_e32 v4, v4
	s_waitcnt_depctr 0xfff
	v_mul_f32_e32 v8, 0x4f7ffffe, v4
	v_mad_u64_u32 v[4:5], null, s0, s1, v[0:1]
	v_mov_b32_e32 v0, 0
	v_lshl_add_u32 v7, v6, 3, v7
	s_delay_alu instid0(VALU_DEP_4) | instskip(SKIP_3) | instid1(VALU_DEP_2)
	v_cvt_u32_f32_e32 v8, v8
	v_mad_u64_u32 v[5:6], null, s2, s14, v[1:2]
	s_sub_i32 s0, 0, s20
	s_lshl_b32 s14, s8, 3
	v_mul_lo_u32 v1, s0, v8
	s_lshl_b32 s0, s7, 2
	v_mul_lo_u32 v10, s17, v4
	s_lshl_b32 s17, s9, 3
	s_delay_alu instid0(VALU_DEP_3)
	v_add_nc_u32_e32 v6, s2, v5
	s_lshl_b32 s2, s7, 3
	s_add_i32 s9, s0, 0
	s_add_i32 s2, s2, 0
	v_mul_hi_u32 v1, v8, v1
	v_min_i32_e32 v11, s7, v6
	s_add_i32 s2, s2, s14
	v_cmp_gt_i32_e32 vcc_lo, s5, v4
	s_add_i32 s10, s9, s0
	v_add3_u32 v12, s2, s17, v7
	v_cmp_lt_i32_e64 s0, v5, v11
	s_add_i32 s14, s10, s17
	v_add_nc_u32_e32 v13, v8, v1
	v_mov_b32_e32 v1, v0
	s_mul_i32 s17, s3, s1
	s_branch .LBB8_15
.LBB8_14:                               ;   in Loop: Header=BB8_15 Depth=1
	s_or_b32 exec_lo, exec_lo, s25
	v_add_nc_u32_e32 v3, s22, v3
	s_delay_alu instid0(VALU_DEP_1) | instskip(NEXT) | instid1(VALU_DEP_1)
	v_cmp_ge_i32_e64 s1, v3, v2
	s_or_b32 s15, s1, s15
	s_delay_alu instid0(SALU_CYCLE_1)
	s_and_not1_b32 exec_lo, exec_lo, s15
	s_cbranch_execz .LBB8_30
.LBB8_15:                               ; =>This Loop Header: Depth=1
                                        ;     Child Loop BB8_18 Depth 2
                                        ;       Child Loop BB8_21 Depth 3
                                        ;         Child Loop BB8_24 Depth 4
                                        ;           Child Loop BB8_26 Depth 5
                                        ;       Child Loop BB8_29 Depth 3
	s_and_saveexec_b32 s25, s0
	s_cbranch_execz .LBB8_14
; %bb.16:                               ;   in Loop: Header=BB8_15 Depth=1
	v_mul_lo_u32 v6, v3, s8
	s_mov_b32 s26, 0
	s_delay_alu instid0(VALU_DEP_1) | instskip(SKIP_1) | instid1(VALU_DEP_2)
	v_sub_nc_u32_e32 v8, 0, v6
	v_add3_u32 v7, s23, s8, v6
	v_max_i32_e32 v8, v6, v8
	s_delay_alu instid0(VALU_DEP_2) | instskip(SKIP_1) | instid1(VALU_DEP_3)
	v_sub_nc_u32_e32 v9, 0, v7
	v_ashrrev_i32_e32 v6, 31, v6
	v_mul_hi_u32 v14, v8, v13
	s_delay_alu instid0(VALU_DEP_3) | instskip(SKIP_1) | instid1(VALU_DEP_4)
	v_max_i32_e32 v9, v7, v9
	v_ashrrev_i32_e32 v7, 31, v7
	v_xor_b32_e32 v6, s6, v6
	s_delay_alu instid0(VALU_DEP_3) | instskip(NEXT) | instid1(VALU_DEP_3)
	v_mul_hi_u32 v15, v9, v13
	v_xor_b32_e32 v7, s6, v7
	v_mul_lo_u32 v16, v14, s20
	s_delay_alu instid0(VALU_DEP_3) | instskip(NEXT) | instid1(VALU_DEP_2)
	v_mul_lo_u32 v17, v15, s20
	v_sub_nc_u32_e32 v8, v8, v16
	v_add_nc_u32_e32 v16, 1, v14
	s_delay_alu instid0(VALU_DEP_2) | instskip(NEXT) | instid1(VALU_DEP_4)
	v_cmp_le_u32_e64 s1, s20, v8
	v_sub_nc_u32_e32 v9, v9, v17
	v_add_nc_u32_e32 v17, 1, v15
	s_delay_alu instid0(VALU_DEP_3) | instskip(SKIP_1) | instid1(VALU_DEP_4)
	v_cndmask_b32_e64 v14, v14, v16, s1
	v_subrev_nc_u32_e32 v16, s20, v8
	v_subrev_nc_u32_e32 v18, s20, v9
	v_cmp_le_u32_e64 s2, s20, v9
	s_delay_alu instid0(VALU_DEP_3) | instskip(SKIP_1) | instid1(VALU_DEP_3)
	v_cndmask_b32_e64 v8, v8, v16, s1
	v_add_nc_u32_e32 v16, 1, v14
	v_cndmask_b32_e64 v15, v15, v17, s2
	v_cndmask_b32_e64 v9, v9, v18, s2
	s_delay_alu instid0(VALU_DEP_4) | instskip(NEXT) | instid1(VALU_DEP_3)
	v_cmp_le_u32_e64 s1, s20, v8
	v_add_nc_u32_e32 v17, 1, v15
	s_delay_alu instid0(VALU_DEP_2) | instskip(NEXT) | instid1(VALU_DEP_4)
	v_cndmask_b32_e64 v8, v14, v16, s1
	v_cmp_le_u32_e64 s1, s20, v9
	v_mul_lo_u32 v16, v3, s7
	s_delay_alu instid0(VALU_DEP_3) | instskip(NEXT) | instid1(VALU_DEP_3)
	v_xor_b32_e32 v8, v8, v6
	v_cndmask_b32_e64 v9, v15, v17, s1
	v_mov_b32_e32 v17, v5
	s_delay_alu instid0(VALU_DEP_3) | instskip(NEXT) | instid1(VALU_DEP_3)
	v_sub_nc_u32_e32 v14, v8, v6
	v_xor_b32_e32 v9, v9, v7
	s_delay_alu instid0(VALU_DEP_1) | instskip(NEXT) | instid1(VALU_DEP_1)
	v_sub_nc_u32_e32 v15, v9, v7
	v_cmp_lt_i32_e64 s1, v14, v15
	s_branch .LBB8_18
.LBB8_17:                               ;   in Loop: Header=BB8_18 Depth=2
	s_or_b32 exec_lo, exec_lo, s27
	v_add_nc_u32_e32 v17, s12, v17
	s_delay_alu instid0(VALU_DEP_1) | instskip(NEXT) | instid1(VALU_DEP_1)
	v_cmp_ge_i32_e64 s2, v17, v11
	s_or_b32 s26, s2, s26
	s_delay_alu instid0(SALU_CYCLE_1)
	s_and_not1_b32 exec_lo, exec_lo, s26
	s_cbranch_execz .LBB8_14
.LBB8_18:                               ;   Parent Loop BB8_15 Depth=1
                                        ; =>  This Loop Header: Depth=2
                                        ;       Child Loop BB8_21 Depth 3
                                        ;         Child Loop BB8_24 Depth 4
                                        ;           Child Loop BB8_26 Depth 5
                                        ;       Child Loop BB8_29 Depth 3
	s_delay_alu instid0(VALU_DEP_1)
	s_and_saveexec_b32 s27, s1
	s_cbranch_execz .LBB8_27
; %bb.19:                               ;   in Loop: Header=BB8_18 Depth=2
	v_lshlrev_b32_e32 v6, 2, v17
	s_mov_b32 s28, 0
	s_delay_alu instid0(VALU_DEP_1)
	v_dual_mov_b32 v20, v14 :: v_dual_add_nc_u32 v7, 0, v6
	v_add_nc_u32_e32 v6, s9, v6
	ds_load_b32 v18, v7
	ds_load_b32 v19, v6
	s_waitcnt lgkmcnt(0)
	v_cmp_lt_i32_e64 s2, v18, v19
	s_branch .LBB8_21
.LBB8_20:                               ;   in Loop: Header=BB8_21 Depth=3
	s_or_b32 exec_lo, exec_lo, s29
	v_add_nc_u32_e32 v20, 1, v20
	s_delay_alu instid0(VALU_DEP_1) | instskip(NEXT) | instid1(VALU_DEP_1)
	v_cmp_ge_i32_e64 s3, v20, v15
	s_or_b32 s28, s3, s28
	s_delay_alu instid0(SALU_CYCLE_1)
	s_and_not1_b32 exec_lo, exec_lo, s28
	s_cbranch_execz .LBB8_27
.LBB8_21:                               ;   Parent Loop BB8_15 Depth=1
                                        ;     Parent Loop BB8_18 Depth=2
                                        ; =>    This Loop Header: Depth=3
                                        ;         Child Loop BB8_24 Depth 4
                                        ;           Child Loop BB8_26 Depth 5
	s_delay_alu instid0(VALU_DEP_1)
	s_and_saveexec_b32 s29, s2
	s_cbranch_execz .LBB8_20
; %bb.22:                               ;   in Loop: Header=BB8_21 Depth=3
	v_mul_lo_u32 v6, v20, s18
	v_lshl_add_u32 v21, v20, 3, s14
	v_mov_b32_e32 v24, v18
	s_mov_b32 s30, 0
	s_delay_alu instid0(VALU_DEP_3) | instskip(NEXT) | instid1(VALU_DEP_1)
	v_ashrrev_i32_e32 v7, 31, v6
	v_lshlrev_b64 v[6:7], 3, v[6:7]
	s_delay_alu instid0(VALU_DEP_1) | instskip(NEXT) | instid1(VALU_DEP_1)
	v_add_co_u32 v22, s3, s16, v6
	v_add_co_ci_u32_e64 v23, s3, s21, v7, s3
	s_branch .LBB8_24
.LBB8_23:                               ;   in Loop: Header=BB8_24 Depth=4
	s_or_b32 exec_lo, exec_lo, s31
	v_add_nc_u32_e32 v24, 1, v24
	s_delay_alu instid0(VALU_DEP_1) | instskip(NEXT) | instid1(VALU_DEP_1)
	v_cmp_ge_i32_e64 s3, v24, v19
	s_or_b32 s30, s3, s30
	s_delay_alu instid0(SALU_CYCLE_1)
	s_and_not1_b32 exec_lo, exec_lo, s30
	s_cbranch_execz .LBB8_20
.LBB8_24:                               ;   Parent Loop BB8_15 Depth=1
                                        ;     Parent Loop BB8_18 Depth=2
                                        ;       Parent Loop BB8_21 Depth=3
                                        ; =>      This Loop Header: Depth=4
                                        ;           Child Loop BB8_26 Depth 5
	s_and_saveexec_b32 s31, vcc_lo
	s_cbranch_execz .LBB8_23
; %bb.25:                               ;   in Loop: Header=BB8_24 Depth=4
	v_lshl_add_u32 v6, v24, 3, s10
	v_mov_b32_e32 v27, v12
	v_mov_b32_e32 v28, v4
	s_mov_b32 s33, 0
	ds_load_b64 v[6:7], v6
	ds_load_b64 v[8:9], v21
	s_waitcnt lgkmcnt(0)
	v_mul_f64 v[6:7], v[6:7], v[8:9]
	v_mul_lo_u32 v8, v24, s19
	s_delay_alu instid0(VALU_DEP_1) | instskip(NEXT) | instid1(VALU_DEP_1)
	v_ashrrev_i32_e32 v9, 31, v8
	v_lshlrev_b64 v[8:9], 3, v[8:9]
	s_delay_alu instid0(VALU_DEP_1) | instskip(SKIP_1) | instid1(VALU_DEP_3)
	v_add_co_u32 v25, s3, v22, v8
	v_mov_b32_e32 v8, v10
	v_add_co_ci_u32_e64 v26, s3, v23, v9, s3
	.p2align	6
.LBB8_26:                               ;   Parent Loop BB8_15 Depth=1
                                        ;     Parent Loop BB8_18 Depth=2
                                        ;       Parent Loop BB8_21 Depth=3
                                        ;         Parent Loop BB8_24 Depth=4
                                        ; =>        This Inner Loop Header: Depth=5
	s_delay_alu instid0(VALU_DEP_2) | instskip(SKIP_4) | instid1(VALU_DEP_2)
	v_ashrrev_i32_e32 v9, 31, v8
	ds_load_b64 v[31:32], v27
	v_add_nc_u32_e32 v28, s11, v28
	v_lshlrev_b64 v[29:30], 3, v[8:9]
	v_add_nc_u32_e32 v8, s17, v8
	v_add_co_u32 v29, s3, v25, v29
	s_delay_alu instid0(VALU_DEP_1)
	v_add_co_ci_u32_e64 v30, s3, v26, v30, s3
	v_cmp_le_i32_e64 s3, s5, v28
	global_load_b64 v[29:30], v[29:30], off
	s_or_b32 s33, s3, s33
	s_waitcnt vmcnt(0) lgkmcnt(0)
	v_fma_f64 v[29:30], v[6:7], v[29:30], v[31:32]
	ds_store_b64 v27, v[29:30]
	v_add_nc_u32_e32 v27, s24, v27
	s_and_not1_b32 exec_lo, exec_lo, s33
	s_cbranch_execnz .LBB8_26
	s_branch .LBB8_23
.LBB8_27:                               ;   in Loop: Header=BB8_18 Depth=2
	s_or_b32 exec_lo, exec_lo, s27
	s_and_saveexec_b32 s27, vcc_lo
	s_cbranch_execz .LBB8_17
; %bb.28:                               ;   in Loop: Header=BB8_18 Depth=2
	v_add_nc_u32_e32 v6, v17, v16
	v_mov_b32_e32 v8, v12
	s_mov_b32 s28, 0
	s_delay_alu instid0(VALU_DEP_2) | instskip(NEXT) | instid1(VALU_DEP_1)
	v_mul_lo_u32 v6, v6, s5
	v_ashrrev_i32_e32 v7, 31, v6
	s_delay_alu instid0(VALU_DEP_1) | instskip(NEXT) | instid1(VALU_DEP_1)
	v_lshlrev_b64 v[6:7], 3, v[6:7]
	v_add_co_u32 v9, s2, s4, v6
	s_delay_alu instid0(VALU_DEP_1)
	v_add_co_ci_u32_e64 v18, s2, s13, v7, s2
	v_mov_b32_e32 v6, v4
	.p2align	6
.LBB8_29:                               ;   Parent Loop BB8_15 Depth=1
                                        ;     Parent Loop BB8_18 Depth=2
                                        ; =>    This Inner Loop Header: Depth=3
	ds_load_b64 v[19:20], v8
	v_ashrrev_i32_e32 v7, 31, v6
	ds_store_b64 v8, v[0:1]
	v_add_nc_u32_e32 v8, s24, v8
	v_lshlrev_b64 v[21:22], 3, v[6:7]
	v_add_nc_u32_e32 v6, s11, v6
	s_delay_alu instid0(VALU_DEP_1) | instskip(NEXT) | instid1(VALU_DEP_3)
	v_cmp_le_i32_e64 s2, s5, v6
	v_add_co_u32 v21, s3, v9, v21
	s_delay_alu instid0(VALU_DEP_1) | instskip(NEXT) | instid1(VALU_DEP_3)
	v_add_co_ci_u32_e64 v22, s3, v18, v22, s3
	s_or_b32 s28, s2, s28
	s_waitcnt lgkmcnt(1)
	global_store_b64 v[21:22], v[19:20], off
	s_and_not1_b32 exec_lo, exec_lo, s28
	s_cbranch_execnz .LBB8_29
	s_branch .LBB8_17
.LBB8_30:
	s_nop 0
	s_sendmsg sendmsg(MSG_DEALLOC_VGPRS)
	s_endpgm
	.section	.rodata,"a",@progbits
	.p2align	6, 0x0
	.amdhsa_kernel _ZN2at6native12_GLOBAL__N_131adaptive_average_gradinput_nhwcIidEEvPT0_PKS3_iiiiiiiiT_S7_S7_S7_
		.amdhsa_group_segment_fixed_size 0
		.amdhsa_private_segment_fixed_size 0
		.amdhsa_kernarg_size 320
		.amdhsa_user_sgpr_count 13
		.amdhsa_user_sgpr_dispatch_ptr 0
		.amdhsa_user_sgpr_queue_ptr 0
		.amdhsa_user_sgpr_kernarg_segment_ptr 1
		.amdhsa_user_sgpr_dispatch_id 0
		.amdhsa_user_sgpr_private_segment_size 0
		.amdhsa_wavefront_size32 1
		.amdhsa_uses_dynamic_stack 0
		.amdhsa_enable_private_segment 0
		.amdhsa_system_sgpr_workgroup_id_x 1
		.amdhsa_system_sgpr_workgroup_id_y 1
		.amdhsa_system_sgpr_workgroup_id_z 1
		.amdhsa_system_sgpr_workgroup_info 0
		.amdhsa_system_vgpr_workitem_id 2
		.amdhsa_next_free_vgpr 33
		.amdhsa_next_free_sgpr 35
		.amdhsa_reserve_vcc 1
		.amdhsa_float_round_mode_32 0
		.amdhsa_float_round_mode_16_64 0
		.amdhsa_float_denorm_mode_32 3
		.amdhsa_float_denorm_mode_16_64 3
		.amdhsa_dx10_clamp 1
		.amdhsa_ieee_mode 1
		.amdhsa_fp16_overflow 0
		.amdhsa_workgroup_processor_mode 1
		.amdhsa_memory_ordered 1
		.amdhsa_forward_progress 0
		.amdhsa_shared_vgpr_count 0
		.amdhsa_exception_fp_ieee_invalid_op 0
		.amdhsa_exception_fp_denorm_src 0
		.amdhsa_exception_fp_ieee_div_zero 0
		.amdhsa_exception_fp_ieee_overflow 0
		.amdhsa_exception_fp_ieee_underflow 0
		.amdhsa_exception_fp_ieee_inexact 0
		.amdhsa_exception_int_div_zero 0
	.end_amdhsa_kernel
	.section	.text._ZN2at6native12_GLOBAL__N_131adaptive_average_gradinput_nhwcIidEEvPT0_PKS3_iiiiiiiiT_S7_S7_S7_,"axG",@progbits,_ZN2at6native12_GLOBAL__N_131adaptive_average_gradinput_nhwcIidEEvPT0_PKS3_iiiiiiiiT_S7_S7_S7_,comdat
.Lfunc_end8:
	.size	_ZN2at6native12_GLOBAL__N_131adaptive_average_gradinput_nhwcIidEEvPT0_PKS3_iiiiiiiiT_S7_S7_S7_, .Lfunc_end8-_ZN2at6native12_GLOBAL__N_131adaptive_average_gradinput_nhwcIidEEvPT0_PKS3_iiiiiiiiT_S7_S7_S7_
                                        ; -- End function
	.section	.AMDGPU.csdata,"",@progbits
; Kernel info:
; codeLenInByte = 3344
; NumSgprs: 37
; NumVgprs: 33
; ScratchSize: 0
; MemoryBound: 0
; FloatMode: 240
; IeeeMode: 1
; LDSByteSize: 0 bytes/workgroup (compile time only)
; SGPRBlocks: 4
; VGPRBlocks: 4
; NumSGPRsForWavesPerEU: 37
; NumVGPRsForWavesPerEU: 33
; Occupancy: 16
; WaveLimiterHint : 0
; COMPUTE_PGM_RSRC2:SCRATCH_EN: 0
; COMPUTE_PGM_RSRC2:USER_SGPR: 13
; COMPUTE_PGM_RSRC2:TRAP_HANDLER: 0
; COMPUTE_PGM_RSRC2:TGID_X_EN: 1
; COMPUTE_PGM_RSRC2:TGID_Y_EN: 1
; COMPUTE_PGM_RSRC2:TGID_Z_EN: 1
; COMPUTE_PGM_RSRC2:TIDIG_COMP_CNT: 2
	.section	.text._ZN2at6native12_GLOBAL__N_131adaptive_average_gradinput_nhwcIifEEvPT0_PKS3_iiiiiiiiT_S7_S7_S7_,"axG",@progbits,_ZN2at6native12_GLOBAL__N_131adaptive_average_gradinput_nhwcIifEEvPT0_PKS3_iiiiiiiiT_S7_S7_S7_,comdat
	.globl	_ZN2at6native12_GLOBAL__N_131adaptive_average_gradinput_nhwcIifEEvPT0_PKS3_iiiiiiiiT_S7_S7_S7_ ; -- Begin function _ZN2at6native12_GLOBAL__N_131adaptive_average_gradinput_nhwcIifEEvPT0_PKS3_iiiiiiiiT_S7_S7_S7_
	.p2align	8
	.type	_ZN2at6native12_GLOBAL__N_131adaptive_average_gradinput_nhwcIifEEvPT0_PKS3_iiiiiiiiT_S7_S7_S7_,@function
_ZN2at6native12_GLOBAL__N_131adaptive_average_gradinput_nhwcIifEEvPT0_PKS3_iiiiiiiiT_S7_S7_S7_: ; @_ZN2at6native12_GLOBAL__N_131adaptive_average_gradinput_nhwcIifEEvPT0_PKS3_iiiiiiiiT_S7_S7_S7_
; %bb.0:
	s_clause 0x3
	s_load_b128 s[20:23], s[0:1], 0x44
	s_load_b256 s[4:11], s[0:1], 0x10
	s_load_b128 s[16:19], s[0:1], 0x30
	s_load_b128 s[24:27], s[0:1], 0x0
	v_bfe_u32 v1, v0, 10, 10
	v_bfe_u32 v2, v0, 20, 10
	v_and_b32_e32 v0, 0x3ff, v0
	s_mov_b32 s3, exec_lo
	s_waitcnt lgkmcnt(0)
	s_lshr_b32 s12, s22, 16
	s_and_b32 s1, s22, 0xffff
	v_mad_u32_u24 v5, v2, s12, v1
	s_and_b32 s22, s23, 0xffff
	s_mul_i32 s2, s12, s1
	s_delay_alu instid0(SALU_CYCLE_1) | instskip(NEXT) | instid1(VALU_DEP_1)
	s_mul_i32 s2, s2, s22
	v_mad_u64_u32 v[3:4], null, v5, s1, v[0:1]
	s_delay_alu instid0(VALU_DEP_1)
	v_cmpx_gt_i32_e64 s7, v3
	s_cbranch_execz .LBB9_3
; %bb.1:
	s_abs_i32 s23, s7
	s_add_i32 s31, s7, s9
	v_cvt_f32_u32_e32 v4, s23
	s_sub_i32 s0, 0, s23
	s_ashr_i32 s28, s7, 31
	s_mov_b32 s29, 0
	s_lshl_b32 s33, s7, 2
	v_rcp_iflag_f32_e32 v4, v4
	s_mov_b32 s34, 0
	s_waitcnt_depctr 0xfff
	v_mul_f32_e32 v4, 0x4f7ffffe, v4
	s_delay_alu instid0(VALU_DEP_1) | instskip(SKIP_1) | instid1(VALU_DEP_2)
	v_cvt_u32_f32_e32 v8, v4
	v_mul_lo_u32 v4, s9, v3
	v_mul_lo_u32 v6, s0, v8
	s_mul_i32 s0, s9, s12
	s_delay_alu instid0(SALU_CYCLE_1) | instskip(NEXT) | instid1(VALU_DEP_2)
	s_mul_i32 s30, s0, s1
	v_add3_u32 v7, s31, v4, -1
	s_mul_i32 s30, s30, s22
	s_lshl_b32 s31, s2, 2
	s_delay_alu instid0(VALU_DEP_2) | instskip(SKIP_1) | instid1(VALU_DEP_2)
	v_mul_hi_u32 v9, v8, v6
	v_lshl_add_u32 v6, v3, 2, 0
	v_dual_mov_b32 v9, v3 :: v_dual_add_nc_u32 v8, v8, v9
.LBB9_2:                                ; =>This Inner Loop Header: Depth=1
	v_add_nc_u32_e32 v10, s34, v4
	s_delay_alu instid0(VALU_DEP_2) | instskip(NEXT) | instid1(VALU_DEP_2)
	v_add_nc_u32_e32 v9, s2, v9
	v_sub_nc_u32_e32 v12, 0, v10
	v_ashrrev_i32_e32 v13, 31, v10
	s_delay_alu instid0(VALU_DEP_2) | instskip(NEXT) | instid1(VALU_DEP_2)
	v_max_i32_e32 v10, v10, v12
	v_xor_b32_e32 v12, s28, v13
	s_delay_alu instid0(VALU_DEP_2) | instskip(NEXT) | instid1(VALU_DEP_1)
	v_mul_hi_u32 v13, v10, v8
	v_mul_lo_u32 v16, v13, s23
	v_add_nc_u32_e32 v18, 1, v13
	s_delay_alu instid0(VALU_DEP_2) | instskip(NEXT) | instid1(VALU_DEP_1)
	v_sub_nc_u32_e32 v10, v10, v16
	v_subrev_nc_u32_e32 v16, s23, v10
	v_cmp_le_u32_e32 vcc_lo, s23, v10
	v_add_nc_u32_e32 v11, s34, v7
	s_add_i32 s34, s34, s30
	s_delay_alu instid0(VALU_DEP_3) | instskip(NEXT) | instid1(VALU_DEP_2)
	v_cndmask_b32_e32 v10, v10, v16, vcc_lo
	v_sub_nc_u32_e32 v14, 0, v11
	v_ashrrev_i32_e32 v15, 31, v11
	v_cndmask_b32_e32 v13, v13, v18, vcc_lo
	s_delay_alu instid0(VALU_DEP_4) | instskip(NEXT) | instid1(VALU_DEP_4)
	v_cmp_le_u32_e32 vcc_lo, s23, v10
	v_max_i32_e32 v11, v11, v14
	s_delay_alu instid0(VALU_DEP_3) | instskip(NEXT) | instid1(VALU_DEP_2)
	v_add_nc_u32_e32 v16, 1, v13
	v_mul_hi_u32 v14, v11, v8
	s_delay_alu instid0(VALU_DEP_2) | instskip(SKIP_1) | instid1(VALU_DEP_2)
	v_cndmask_b32_e32 v10, v13, v16, vcc_lo
	v_xor_b32_e32 v13, s28, v15
	v_xor_b32_e32 v10, v10, v12
	s_delay_alu instid0(VALU_DEP_4) | instskip(SKIP_1) | instid1(VALU_DEP_3)
	v_mul_lo_u32 v17, v14, s23
	v_add_nc_u32_e32 v19, 1, v14
	v_sub_nc_u32_e32 v10, v10, v12
	v_add_nc_u32_e32 v12, s33, v6
	s_delay_alu instid0(VALU_DEP_4) | instskip(SKIP_4) | instid1(VALU_DEP_1)
	v_sub_nc_u32_e32 v11, v11, v17
	ds_store_b32 v6, v10
	v_add_nc_u32_e32 v6, s31, v6
	v_subrev_nc_u32_e32 v17, s23, v11
	v_cmp_le_u32_e64 s0, s23, v11
	v_cndmask_b32_e64 v14, v14, v19, s0
	s_delay_alu instid0(VALU_DEP_3) | instskip(NEXT) | instid1(VALU_DEP_2)
	v_cndmask_b32_e64 v11, v11, v17, s0
	v_add_nc_u32_e32 v17, 1, v14
	s_delay_alu instid0(VALU_DEP_2) | instskip(NEXT) | instid1(VALU_DEP_2)
	v_cmp_le_u32_e32 vcc_lo, s23, v11
	v_cndmask_b32_e32 v11, v14, v17, vcc_lo
	v_cmp_le_i32_e32 vcc_lo, s7, v9
	s_delay_alu instid0(VALU_DEP_2) | instskip(SKIP_1) | instid1(VALU_DEP_1)
	v_xor_b32_e32 v11, v11, v13
	s_or_b32 s29, vcc_lo, s29
	v_sub_nc_u32_e32 v11, v11, v13
	ds_store_b32 v12, v11
	s_and_not1_b32 exec_lo, exec_lo, s29
	s_cbranch_execnz .LBB9_2
.LBB9_3:
	s_or_b32 exec_lo, exec_lo, s3
	v_lshlrev_b32_e32 v4, 2, v3
	s_mov_b32 s3, exec_lo
	v_cmpx_gt_i32_e64 s8, v3
	s_cbranch_execz .LBB9_6
; %bb.4:
	s_abs_i32 s23, s8
	s_lshl_b32 s30, s7, 3
	v_cvt_f32_u32_e32 v6, s23
	s_sub_i32 s0, 0, s23
	s_lshl_b32 s31, s9, 2
	s_add_i32 s33, s8, s6
	s_add_i32 s30, s30, s31
	v_rcp_iflag_f32_e32 v6, v6
	s_ashr_i32 s28, s8, 31
	s_mov_b32 s29, 0
	s_lshl_b32 s31, s2, 2
	s_waitcnt_depctr 0xfff
	v_mul_f32_e32 v6, 0x4f7ffffe, v6
	s_delay_alu instid0(VALU_DEP_1) | instskip(SKIP_1) | instid1(VALU_DEP_2)
	v_cvt_u32_f32_e32 v9, v6
	v_mul_lo_u32 v6, s6, v3
	v_mul_lo_u32 v7, s0, v9
	s_mul_i32 s0, s6, s12
	s_delay_alu instid0(SALU_CYCLE_1) | instskip(NEXT) | instid1(VALU_DEP_2)
	s_mul_i32 s0, s0, s1
	v_add3_u32 v8, s33, v6, -1
	s_mov_b32 s33, 0
	s_delay_alu instid0(VALU_DEP_2) | instskip(SKIP_2) | instid1(VALU_DEP_2)
	v_mul_hi_u32 v10, v9, v7
	v_add3_u32 v7, 0, s30, v4
	s_mul_i32 s30, s0, s22
	v_dual_mov_b32 v10, v3 :: v_dual_add_nc_u32 v9, v9, v10
.LBB9_5:                                ; =>This Inner Loop Header: Depth=1
	v_add_nc_u32_e32 v11, s33, v8
	s_delay_alu instid0(VALU_DEP_2) | instskip(NEXT) | instid1(VALU_DEP_2)
	v_add_nc_u32_e32 v10, s2, v10
	v_sub_nc_u32_e32 v13, 0, v11
	v_ashrrev_i32_e32 v14, 31, v11
	s_delay_alu instid0(VALU_DEP_2) | instskip(NEXT) | instid1(VALU_DEP_2)
	v_max_i32_e32 v11, v11, v13
	v_xor_b32_e32 v13, s28, v14
	s_delay_alu instid0(VALU_DEP_2) | instskip(NEXT) | instid1(VALU_DEP_1)
	v_mul_hi_u32 v14, v11, v9
	v_mul_lo_u32 v17, v14, s23
	v_add_nc_u32_e32 v19, 1, v14
	s_delay_alu instid0(VALU_DEP_2) | instskip(NEXT) | instid1(VALU_DEP_1)
	v_sub_nc_u32_e32 v11, v11, v17
	v_cmp_le_u32_e32 vcc_lo, s23, v11
	v_subrev_nc_u32_e32 v17, s23, v11
	v_add_nc_u32_e32 v12, s33, v6
	s_add_i32 s33, s33, s30
	s_delay_alu instid0(VALU_DEP_2) | instskip(NEXT) | instid1(VALU_DEP_2)
	v_dual_cndmask_b32 v14, v14, v19 :: v_dual_cndmask_b32 v11, v11, v17
	v_sub_nc_u32_e32 v15, 0, v12
	v_ashrrev_i32_e32 v16, 31, v12
	s_delay_alu instid0(VALU_DEP_3) | instskip(NEXT) | instid1(VALU_DEP_4)
	v_add_nc_u32_e32 v17, 1, v14
	v_cmp_le_u32_e32 vcc_lo, s23, v11
	s_delay_alu instid0(VALU_DEP_4) | instskip(NEXT) | instid1(VALU_DEP_4)
	v_max_i32_e32 v12, v12, v15
	v_xor_b32_e32 v16, s28, v16
	s_delay_alu instid0(VALU_DEP_4) | instskip(NEXT) | instid1(VALU_DEP_3)
	v_cndmask_b32_e32 v11, v14, v17, vcc_lo
	v_mul_hi_u32 v15, v12, v9
	s_delay_alu instid0(VALU_DEP_2) | instskip(NEXT) | instid1(VALU_DEP_2)
	v_xor_b32_e32 v11, v11, v13
	v_mul_lo_u32 v18, v15, s23
	v_add_nc_u32_e32 v20, 1, v15
	s_delay_alu instid0(VALU_DEP_3) | instskip(NEXT) | instid1(VALU_DEP_3)
	v_sub_nc_u32_e32 v11, v11, v13
	v_sub_nc_u32_e32 v12, v12, v18
	s_delay_alu instid0(VALU_DEP_1) | instskip(SKIP_1) | instid1(VALU_DEP_1)
	v_subrev_nc_u32_e32 v18, s23, v12
	v_cmp_le_u32_e64 s0, s23, v12
	v_cndmask_b32_e64 v15, v15, v20, s0
	s_delay_alu instid0(VALU_DEP_3) | instskip(NEXT) | instid1(VALU_DEP_2)
	v_cndmask_b32_e64 v12, v12, v18, s0
	v_add_nc_u32_e32 v18, 1, v15
	s_delay_alu instid0(VALU_DEP_2) | instskip(NEXT) | instid1(VALU_DEP_2)
	v_cmp_le_u32_e32 vcc_lo, s23, v12
	v_cndmask_b32_e32 v12, v15, v18, vcc_lo
	s_delay_alu instid0(VALU_DEP_1) | instskip(NEXT) | instid1(VALU_DEP_1)
	v_xor_b32_e32 v12, v12, v16
	v_sub_nc_u32_e32 v12, v16, v12
	s_delay_alu instid0(VALU_DEP_1) | instskip(NEXT) | instid1(VALU_DEP_1)
	v_add_nc_u32_e32 v11, v11, v12
	v_cvt_f32_i32_e32 v11, v11
	s_delay_alu instid0(VALU_DEP_1) | instskip(SKIP_1) | instid1(VALU_DEP_2)
	v_div_scale_f32 v12, null, v11, v11, 1.0
	v_div_scale_f32 v15, vcc_lo, 1.0, v11, 1.0
	v_rcp_f32_e32 v13, v12
	s_waitcnt_depctr 0xfff
	v_fma_f32 v14, -v12, v13, 1.0
	s_delay_alu instid0(VALU_DEP_1) | instskip(NEXT) | instid1(VALU_DEP_1)
	v_fmac_f32_e32 v13, v14, v13
	v_mul_f32_e32 v14, v15, v13
	s_delay_alu instid0(VALU_DEP_1) | instskip(NEXT) | instid1(VALU_DEP_1)
	v_fma_f32 v16, -v12, v14, v15
	v_fmac_f32_e32 v14, v16, v13
	s_delay_alu instid0(VALU_DEP_1) | instskip(NEXT) | instid1(VALU_DEP_1)
	v_fma_f32 v12, -v12, v14, v15
	v_div_fmas_f32 v12, v12, v13, v14
	v_cmp_le_i32_e32 vcc_lo, s8, v10
	s_delay_alu instid0(VALU_DEP_2)
	v_div_fixup_f32 v11, v12, v11, 1.0
	s_or_b32 s29, vcc_lo, s29
	ds_store_b32 v7, v11
	v_add_nc_u32_e32 v7, s31, v7
	s_and_not1_b32 exec_lo, exec_lo, s29
	s_cbranch_execnz .LBB9_5
.LBB9_6:
	s_or_b32 exec_lo, exec_lo, s3
	s_delay_alu instid0(SALU_CYCLE_1)
	s_mov_b32 s3, exec_lo
	v_cmpx_gt_i32_e64 s9, v3
	s_cbranch_execz .LBB9_9
; %bb.7:
	s_abs_i32 s23, s9
	s_add_i32 s30, s9, s7
	v_cvt_f32_u32_e32 v6, s23
	s_sub_i32 s0, 0, s23
	s_lshl_b32 s31, s7, 3
	s_ashr_i32 s28, s9, 31
	s_mov_b32 s29, 0
	v_rcp_iflag_f32_e32 v6, v6
	s_mov_b32 s33, 0
	s_waitcnt_depctr 0xfff
	v_mul_f32_e32 v6, 0x4f7ffffe, v6
	s_delay_alu instid0(VALU_DEP_1) | instskip(SKIP_1) | instid1(VALU_DEP_2)
	v_cvt_u32_f32_e32 v9, v6
	v_mul_lo_u32 v6, s7, v3
	v_mul_lo_u32 v7, s0, v9
	s_mul_i32 s0, s7, s12
	s_delay_alu instid0(SALU_CYCLE_1) | instskip(NEXT) | instid1(VALU_DEP_2)
	s_mul_i32 s0, s0, s1
	v_add3_u32 v8, s30, v6, -1
	s_mul_i32 s30, s0, s22
	s_delay_alu instid0(VALU_DEP_2) | instskip(SKIP_2) | instid1(VALU_DEP_2)
	v_mul_hi_u32 v10, v9, v7
	v_add3_u32 v7, 0, s31, v4
	s_lshl_b32 s31, s2, 2
	v_dual_mov_b32 v10, v3 :: v_dual_add_nc_u32 v9, v9, v10
.LBB9_8:                                ; =>This Inner Loop Header: Depth=1
	v_add_nc_u32_e32 v11, s33, v8
	s_delay_alu instid0(VALU_DEP_2) | instskip(NEXT) | instid1(VALU_DEP_2)
	v_add_nc_u32_e32 v10, s2, v10
	v_sub_nc_u32_e32 v13, 0, v11
	v_ashrrev_i32_e32 v14, 31, v11
	s_delay_alu instid0(VALU_DEP_2) | instskip(NEXT) | instid1(VALU_DEP_2)
	v_max_i32_e32 v11, v11, v13
	v_xor_b32_e32 v13, s28, v14
	s_delay_alu instid0(VALU_DEP_2) | instskip(NEXT) | instid1(VALU_DEP_1)
	v_mul_hi_u32 v14, v11, v9
	v_mul_lo_u32 v17, v14, s23
	v_add_nc_u32_e32 v19, 1, v14
	s_delay_alu instid0(VALU_DEP_2) | instskip(NEXT) | instid1(VALU_DEP_1)
	v_sub_nc_u32_e32 v11, v11, v17
	v_cmp_le_u32_e32 vcc_lo, s23, v11
	v_subrev_nc_u32_e32 v17, s23, v11
	v_add_nc_u32_e32 v12, s33, v6
	s_add_i32 s33, s33, s30
	s_delay_alu instid0(VALU_DEP_2) | instskip(NEXT) | instid1(VALU_DEP_2)
	v_dual_cndmask_b32 v14, v14, v19 :: v_dual_cndmask_b32 v11, v11, v17
	v_sub_nc_u32_e32 v15, 0, v12
	v_ashrrev_i32_e32 v16, 31, v12
	s_delay_alu instid0(VALU_DEP_3) | instskip(NEXT) | instid1(VALU_DEP_4)
	v_add_nc_u32_e32 v17, 1, v14
	v_cmp_le_u32_e32 vcc_lo, s23, v11
	s_delay_alu instid0(VALU_DEP_4) | instskip(NEXT) | instid1(VALU_DEP_4)
	v_max_i32_e32 v12, v12, v15
	v_xor_b32_e32 v16, s28, v16
	s_delay_alu instid0(VALU_DEP_4) | instskip(NEXT) | instid1(VALU_DEP_3)
	v_cndmask_b32_e32 v11, v14, v17, vcc_lo
	v_mul_hi_u32 v15, v12, v9
	s_delay_alu instid0(VALU_DEP_2) | instskip(NEXT) | instid1(VALU_DEP_2)
	v_xor_b32_e32 v11, v11, v13
	v_mul_lo_u32 v18, v15, s23
	v_add_nc_u32_e32 v20, 1, v15
	s_delay_alu instid0(VALU_DEP_3) | instskip(NEXT) | instid1(VALU_DEP_3)
	v_sub_nc_u32_e32 v11, v11, v13
	v_sub_nc_u32_e32 v12, v12, v18
	s_delay_alu instid0(VALU_DEP_1) | instskip(SKIP_1) | instid1(VALU_DEP_1)
	v_subrev_nc_u32_e32 v18, s23, v12
	v_cmp_le_u32_e64 s0, s23, v12
	v_cndmask_b32_e64 v15, v15, v20, s0
	s_delay_alu instid0(VALU_DEP_3) | instskip(NEXT) | instid1(VALU_DEP_2)
	v_cndmask_b32_e64 v12, v12, v18, s0
	v_add_nc_u32_e32 v18, 1, v15
	s_delay_alu instid0(VALU_DEP_2) | instskip(NEXT) | instid1(VALU_DEP_2)
	v_cmp_le_u32_e32 vcc_lo, s23, v12
	v_cndmask_b32_e32 v12, v15, v18, vcc_lo
	s_delay_alu instid0(VALU_DEP_1) | instskip(NEXT) | instid1(VALU_DEP_1)
	v_xor_b32_e32 v12, v12, v16
	v_sub_nc_u32_e32 v12, v16, v12
	s_delay_alu instid0(VALU_DEP_1) | instskip(NEXT) | instid1(VALU_DEP_1)
	v_add_nc_u32_e32 v11, v11, v12
	v_cvt_f32_i32_e32 v11, v11
	s_delay_alu instid0(VALU_DEP_1) | instskip(SKIP_1) | instid1(VALU_DEP_2)
	v_div_scale_f32 v12, null, v11, v11, 1.0
	v_div_scale_f32 v15, vcc_lo, 1.0, v11, 1.0
	v_rcp_f32_e32 v13, v12
	s_waitcnt_depctr 0xfff
	v_fma_f32 v14, -v12, v13, 1.0
	s_delay_alu instid0(VALU_DEP_1) | instskip(NEXT) | instid1(VALU_DEP_1)
	v_fmac_f32_e32 v13, v14, v13
	v_mul_f32_e32 v14, v15, v13
	s_delay_alu instid0(VALU_DEP_1) | instskip(NEXT) | instid1(VALU_DEP_1)
	v_fma_f32 v16, -v12, v14, v15
	v_fmac_f32_e32 v14, v16, v13
	s_delay_alu instid0(VALU_DEP_1) | instskip(NEXT) | instid1(VALU_DEP_1)
	v_fma_f32 v12, -v12, v14, v15
	v_div_fmas_f32 v12, v12, v13, v14
	v_cmp_le_i32_e32 vcc_lo, s9, v10
	s_delay_alu instid0(VALU_DEP_2)
	v_div_fixup_f32 v11, v12, v11, 1.0
	s_or_b32 s29, vcc_lo, s29
	ds_store_b32 v7, v11
	v_add_nc_u32_e32 v7, s31, v7
	s_and_not1_b32 exec_lo, exec_lo, s29
	s_cbranch_execnz .LBB9_8
.LBB9_9:
	s_or_b32 exec_lo, exec_lo, s3
	v_cvt_f32_u32_e32 v6, s4
	s_sub_i32 s3, 0, s4
	s_mov_b32 s28, exec_lo
	s_delay_alu instid0(VALU_DEP_1) | instskip(SKIP_2) | instid1(VALU_DEP_1)
	v_rcp_iflag_f32_e32 v6, v6
	s_waitcnt_depctr 0xfff
	v_mul_f32_e32 v6, 0x4f7ffffe, v6
	v_cvt_u32_f32_e32 v6, v6
	s_delay_alu instid0(VALU_DEP_1) | instskip(NEXT) | instid1(VALU_DEP_1)
	v_readfirstlane_b32 s0, v6
	s_mul_i32 s23, s3, s0
	s_mul_i32 s3, s2, s11
	s_mul_hi_u32 s23, s0, s23
	s_delay_alu instid0(SALU_CYCLE_1)
	s_add_i32 s0, s0, s23
	s_mov_b32 s23, 0
	s_mul_hi_u32 s0, s13, s0
	v_cmpx_gt_u32_e64 s3, v3
	s_cbranch_execz .LBB9_12
; %bb.10:
	s_lshl_b32 s29, s7, 3
	s_lshl_b32 s30, s9, 2
	;; [unrolled: 1-line block ×3, first 2 shown]
	s_add_i32 s29, s29, s30
	v_mov_b32_e32 v6, 0
	s_add_i32 s29, s29, s31
	s_delay_alu instid0(SALU_CYCLE_1)
	v_add3_u32 v4, 0, s29, v4
	s_lshl_b32 s29, s2, 2
.LBB9_11:                               ; =>This Inner Loop Header: Depth=1
	v_add_nc_u32_e32 v3, s2, v3
	ds_store_b32 v4, v6
	v_add_nc_u32_e32 v4, s29, v4
	v_cmp_le_u32_e32 vcc_lo, s3, v3
	s_or_b32 s23, vcc_lo, s23
	s_delay_alu instid0(SALU_CYCLE_1)
	s_and_not1_b32 exec_lo, exec_lo, s23
	s_cbranch_execnz .LBB9_11
.LBB9_12:
	s_or_b32 exec_lo, exec_lo, s28
	v_cvt_f32_u32_e32 v3, s21
	s_sub_i32 s3, 0, s21
	s_add_i32 s23, s6, -1
	s_waitcnt lgkmcnt(0)
	s_add_i32 s28, s23, s21
	v_rcp_iflag_f32_e32 v3, v3
	s_barrier
	buffer_gl0_inv
	v_mul_f32_e32 v3, 0x4f7ffffe, v3
	s_delay_alu instid0(VALU_DEP_1) | instskip(NEXT) | instid1(VALU_DEP_1)
	v_cvt_u32_f32_e32 v3, v3
	v_readfirstlane_b32 s2, v3
	v_cvt_f32_u32_e32 v3, s20
	s_delay_alu instid0(VALU_DEP_2) | instskip(NEXT) | instid1(VALU_DEP_1)
	s_mul_i32 s3, s3, s2
	v_rcp_iflag_f32_e32 v6, v3
	s_mul_hi_u32 s3, s2, s3
	s_delay_alu instid0(SALU_CYCLE_1) | instskip(NEXT) | instid1(SALU_CYCLE_1)
	s_add_i32 s2, s2, s3
	s_mul_hi_u32 s2, s28, s2
	s_delay_alu instid0(SALU_CYCLE_1) | instskip(NEXT) | instid1(SALU_CYCLE_1)
	s_mul_i32 s3, s2, s21
	s_sub_i32 s3, s28, s3
	s_add_i32 s28, s2, 1
	s_sub_i32 s29, s3, s21
	s_cmp_ge_u32 s3, s21
	s_cselect_b32 s2, s28, s2
	s_cselect_b32 s3, s29, s3
	s_add_i32 s28, s2, 1
	s_cmp_ge_u32 s3, s21
	s_mov_b32 s3, exec_lo
	s_cselect_b32 s2, s28, s2
	s_delay_alu instid0(SALU_CYCLE_1) | instskip(SKIP_3) | instid1(VALU_DEP_1)
	v_mad_u64_u32 v[3:4], null, s2, s15, v[2:3]
	s_waitcnt_depctr 0xfff
	v_mul_f32_e32 v2, 0x4f7ffffe, v6
	s_mov_b32 s15, 0
	v_cvt_u32_f32_e32 v6, v2
	v_add_nc_u32_e32 v4, s2, v3
	s_delay_alu instid0(VALU_DEP_2) | instskip(NEXT) | instid1(VALU_DEP_2)
	v_readfirstlane_b32 s2, v6
	v_min_i32_e32 v2, s6, v4
	s_delay_alu instid0(VALU_DEP_1)
	v_cmpx_lt_i32_e64 v3, v2
	s_cbranch_execz .LBB9_30
; %bb.13:
	s_sub_i32 s3, 0, s20
	s_add_i32 s21, s7, s20
	s_mul_i32 s3, s3, s2
	s_mul_i32 s28, s0, s4
	s_mul_hi_u32 s3, s2, s3
	s_add_i32 s30, s21, -1
	s_add_i32 s21, s2, s3
	s_sub_i32 s2, s13, s28
	s_add_i32 s3, s0, 1
	s_sub_i32 s28, s2, s4
	s_cmp_ge_u32 s2, s4
	v_mul_lo_u32 v5, s11, v5
	s_cselect_b32 s0, s3, s0
	s_cselect_b32 s2, s28, s2
	s_add_i32 s3, s0, 1
	s_cmp_ge_u32 s2, s4
	s_mul_i32 s2, s6, s5
	s_cselect_b32 s0, s3, s0
	s_mul_i32 s2, s2, s7
	s_mul_i32 s3, s0, s4
	v_mul_lo_u32 v8, v5, s1
	s_sub_i32 s4, s13, s3
	s_mul_i32 s11, s1, s10
	s_mul_i32 s2, s2, s4
	;; [unrolled: 1-line block ×3, first 2 shown]
	s_ashr_i32 s3, s2, 31
	s_delay_alu instid0(SALU_CYCLE_1) | instskip(NEXT) | instid1(SALU_CYCLE_1)
	s_lshl_b64 s[2:3], s[2:3], 2
	s_add_u32 s4, s24, s2
	s_addc_u32 s13, s25, s3
	s_ashr_i32 s29, s28, 31
	s_mul_hi_u32 s24, s30, s21
	s_lshl_b64 s[2:3], s[28:29], 2
	s_mul_i32 s25, s24, s20
	s_add_u32 s16, s26, s2
	s_addc_u32 s21, s27, s3
	s_sub_i32 s2, s30, s25
	s_add_i32 s3, s24, 1
	s_sub_i32 s25, s2, s20
	s_cmp_ge_u32 s2, s20
	s_cselect_b32 s3, s3, s24
	s_cselect_b32 s2, s25, s2
	s_add_i32 s24, s3, 1
	s_cmp_ge_u32 s2, s20
	s_cselect_b32 s2, s24, s3
	s_abs_i32 s20, s6
	s_mul_i32 s3, s17, s10
	v_cvt_f32_u32_e32 v4, s20
	s_ashr_i32 s6, s6, 31
	s_lshl_b32 s24, s1, 2
	s_delay_alu instid0(VALU_DEP_1)
	v_rcp_iflag_f32_e32 v4, v4
	s_waitcnt_depctr 0xfff
	v_dual_mov_b32 v7, 0 :: v_dual_mul_f32 v6, 0x4f7ffffe, v4
	v_mad_u64_u32 v[4:5], null, s0, s1, v[0:1]
	s_sub_i32 s0, 0, s20
	v_lshlrev_b32_e32 v0, 2, v0
	s_delay_alu instid0(VALU_DEP_3) | instskip(SKIP_3) | instid1(VALU_DEP_3)
	v_cvt_u32_f32_e32 v9, v6
	v_mad_u64_u32 v[5:6], null, s2, s14, v[1:2]
	v_lshlrev_b32_e32 v1, 2, v8
	s_lshl_b32 s14, s8, 2
	v_mul_lo_u32 v8, s0, v9
	s_lshl_b32 s0, s7, 2
	v_mul_lo_u32 v6, s17, v4
	s_lshl_b32 s17, s9, 2
	s_delay_alu instid0(VALU_DEP_4)
	v_add_nc_u32_e32 v10, s2, v5
	s_lshl_b32 s2, s7, 3
	s_add_i32 s9, s0, 0
	v_add3_u32 v0, v1, s2, v0
	v_mul_hi_u32 v11, v9, v8
	v_min_i32_e32 v8, s7, v10
	s_add_i32 s2, s14, 0
	v_cmp_gt_i32_e32 vcc_lo, s5, v4
	s_add_i32 s10, s9, s0
	v_add3_u32 v10, s2, s17, v0
	v_cmp_lt_i32_e64 s0, v5, v8
	s_add_i32 s14, s10, s17
	v_add_nc_u32_e32 v9, v9, v11
	s_mul_i32 s17, s3, s1
	s_branch .LBB9_15
.LBB9_14:                               ;   in Loop: Header=BB9_15 Depth=1
	s_or_b32 exec_lo, exec_lo, s25
	v_add_nc_u32_e32 v3, s22, v3
	s_delay_alu instid0(VALU_DEP_1) | instskip(NEXT) | instid1(VALU_DEP_1)
	v_cmp_ge_i32_e64 s1, v3, v2
	s_or_b32 s15, s1, s15
	s_delay_alu instid0(SALU_CYCLE_1)
	s_and_not1_b32 exec_lo, exec_lo, s15
	s_cbranch_execz .LBB9_30
.LBB9_15:                               ; =>This Loop Header: Depth=1
                                        ;     Child Loop BB9_18 Depth 2
                                        ;       Child Loop BB9_21 Depth 3
                                        ;         Child Loop BB9_24 Depth 4
                                        ;           Child Loop BB9_26 Depth 5
                                        ;       Child Loop BB9_29 Depth 3
	s_and_saveexec_b32 s25, s0
	s_cbranch_execz .LBB9_14
; %bb.16:                               ;   in Loop: Header=BB9_15 Depth=1
	v_mul_lo_u32 v0, v3, s8
	s_mov_b32 s26, 0
	s_delay_alu instid0(VALU_DEP_1) | instskip(SKIP_1) | instid1(VALU_DEP_2)
	v_sub_nc_u32_e32 v11, 0, v0
	v_add3_u32 v1, s23, s8, v0
	v_max_i32_e32 v11, v0, v11
	s_delay_alu instid0(VALU_DEP_2) | instskip(SKIP_1) | instid1(VALU_DEP_3)
	v_sub_nc_u32_e32 v12, 0, v1
	v_ashrrev_i32_e32 v0, 31, v0
	v_mul_hi_u32 v13, v11, v9
	s_delay_alu instid0(VALU_DEP_3) | instskip(SKIP_1) | instid1(VALU_DEP_4)
	v_max_i32_e32 v12, v1, v12
	v_ashrrev_i32_e32 v1, 31, v1
	v_xor_b32_e32 v0, s6, v0
	s_delay_alu instid0(VALU_DEP_3) | instskip(NEXT) | instid1(VALU_DEP_3)
	v_mul_hi_u32 v14, v12, v9
	v_xor_b32_e32 v1, s6, v1
	v_mul_lo_u32 v15, v13, s20
	s_delay_alu instid0(VALU_DEP_3) | instskip(NEXT) | instid1(VALU_DEP_2)
	v_mul_lo_u32 v16, v14, s20
	v_sub_nc_u32_e32 v11, v11, v15
	v_add_nc_u32_e32 v15, 1, v13
	s_delay_alu instid0(VALU_DEP_2) | instskip(NEXT) | instid1(VALU_DEP_4)
	v_cmp_le_u32_e64 s1, s20, v11
	v_sub_nc_u32_e32 v12, v12, v16
	v_add_nc_u32_e32 v16, 1, v14
	s_delay_alu instid0(VALU_DEP_3) | instskip(SKIP_1) | instid1(VALU_DEP_4)
	v_cndmask_b32_e64 v13, v13, v15, s1
	v_subrev_nc_u32_e32 v15, s20, v11
	v_subrev_nc_u32_e32 v17, s20, v12
	v_cmp_le_u32_e64 s2, s20, v12
	s_delay_alu instid0(VALU_DEP_3) | instskip(SKIP_1) | instid1(VALU_DEP_3)
	v_cndmask_b32_e64 v11, v11, v15, s1
	v_add_nc_u32_e32 v15, 1, v13
	v_cndmask_b32_e64 v14, v14, v16, s2
	v_cndmask_b32_e64 v12, v12, v17, s2
	s_delay_alu instid0(VALU_DEP_4) | instskip(NEXT) | instid1(VALU_DEP_3)
	v_cmp_le_u32_e64 s1, s20, v11
	v_add_nc_u32_e32 v16, 1, v14
	s_delay_alu instid0(VALU_DEP_2) | instskip(NEXT) | instid1(VALU_DEP_4)
	v_cndmask_b32_e64 v11, v13, v15, s1
	v_cmp_le_u32_e64 s1, s20, v12
	v_mul_lo_u32 v13, v3, s7
	s_delay_alu instid0(VALU_DEP_3) | instskip(NEXT) | instid1(VALU_DEP_3)
	v_xor_b32_e32 v11, v11, v0
	v_cndmask_b32_e64 v12, v14, v16, s1
	v_mov_b32_e32 v14, v5
	s_delay_alu instid0(VALU_DEP_3) | instskip(NEXT) | instid1(VALU_DEP_3)
	v_sub_nc_u32_e32 v11, v11, v0
	v_xor_b32_e32 v12, v12, v1
	s_delay_alu instid0(VALU_DEP_1) | instskip(NEXT) | instid1(VALU_DEP_1)
	v_sub_nc_u32_e32 v12, v12, v1
	v_cmp_lt_i32_e64 s1, v11, v12
	s_branch .LBB9_18
.LBB9_17:                               ;   in Loop: Header=BB9_18 Depth=2
	s_or_b32 exec_lo, exec_lo, s27
	v_add_nc_u32_e32 v14, s12, v14
	s_delay_alu instid0(VALU_DEP_1) | instskip(NEXT) | instid1(VALU_DEP_1)
	v_cmp_ge_i32_e64 s2, v14, v8
	s_or_b32 s26, s2, s26
	s_delay_alu instid0(SALU_CYCLE_1)
	s_and_not1_b32 exec_lo, exec_lo, s26
	s_cbranch_execz .LBB9_14
.LBB9_18:                               ;   Parent Loop BB9_15 Depth=1
                                        ; =>  This Loop Header: Depth=2
                                        ;       Child Loop BB9_21 Depth 3
                                        ;         Child Loop BB9_24 Depth 4
                                        ;           Child Loop BB9_26 Depth 5
                                        ;       Child Loop BB9_29 Depth 3
	s_delay_alu instid0(VALU_DEP_1)
	s_and_saveexec_b32 s27, s1
	s_cbranch_execz .LBB9_27
; %bb.19:                               ;   in Loop: Header=BB9_18 Depth=2
	v_dual_mov_b32 v17, v11 :: v_dual_lshlrev_b32 v0, 2, v14
	s_mov_b32 s28, 0
	s_delay_alu instid0(VALU_DEP_1)
	v_add_nc_u32_e32 v1, 0, v0
	v_add_nc_u32_e32 v0, s9, v0
	ds_load_b32 v15, v1
	ds_load_b32 v16, v0
	s_waitcnt lgkmcnt(0)
	v_cmp_lt_i32_e64 s2, v15, v16
	s_branch .LBB9_21
.LBB9_20:                               ;   in Loop: Header=BB9_21 Depth=3
	s_or_b32 exec_lo, exec_lo, s29
	v_add_nc_u32_e32 v17, 1, v17
	s_delay_alu instid0(VALU_DEP_1) | instskip(NEXT) | instid1(VALU_DEP_1)
	v_cmp_ge_i32_e64 s3, v17, v12
	s_or_b32 s28, s3, s28
	s_delay_alu instid0(SALU_CYCLE_1)
	s_and_not1_b32 exec_lo, exec_lo, s28
	s_cbranch_execz .LBB9_27
.LBB9_21:                               ;   Parent Loop BB9_15 Depth=1
                                        ;     Parent Loop BB9_18 Depth=2
                                        ; =>    This Loop Header: Depth=3
                                        ;         Child Loop BB9_24 Depth 4
                                        ;           Child Loop BB9_26 Depth 5
	s_delay_alu instid0(VALU_DEP_1)
	s_and_saveexec_b32 s29, s2
	s_cbranch_execz .LBB9_20
; %bb.22:                               ;   in Loop: Header=BB9_21 Depth=3
	v_mul_lo_u32 v0, v17, s18
	v_lshl_add_u32 v18, v17, 2, s14
	v_mov_b32_e32 v21, v15
	s_mov_b32 s30, 0
	s_delay_alu instid0(VALU_DEP_3) | instskip(NEXT) | instid1(VALU_DEP_1)
	v_ashrrev_i32_e32 v1, 31, v0
	v_lshlrev_b64 v[0:1], 2, v[0:1]
	s_delay_alu instid0(VALU_DEP_1) | instskip(NEXT) | instid1(VALU_DEP_1)
	v_add_co_u32 v19, s3, s16, v0
	v_add_co_ci_u32_e64 v20, s3, s21, v1, s3
	s_branch .LBB9_24
.LBB9_23:                               ;   in Loop: Header=BB9_24 Depth=4
	s_or_b32 exec_lo, exec_lo, s31
	v_add_nc_u32_e32 v21, 1, v21
	s_delay_alu instid0(VALU_DEP_1) | instskip(NEXT) | instid1(VALU_DEP_1)
	v_cmp_ge_i32_e64 s3, v21, v16
	s_or_b32 s30, s3, s30
	s_delay_alu instid0(SALU_CYCLE_1)
	s_and_not1_b32 exec_lo, exec_lo, s30
	s_cbranch_execz .LBB9_20
.LBB9_24:                               ;   Parent Loop BB9_15 Depth=1
                                        ;     Parent Loop BB9_18 Depth=2
                                        ;       Parent Loop BB9_21 Depth=3
                                        ; =>      This Loop Header: Depth=4
                                        ;           Child Loop BB9_26 Depth 5
	s_and_saveexec_b32 s31, vcc_lo
	s_cbranch_execz .LBB9_23
; %bb.25:                               ;   in Loop: Header=BB9_24 Depth=4
	v_lshl_add_u32 v1, v21, 2, s10
	v_mul_lo_u32 v0, v21, s19
	s_mov_b32 s33, 0
	ds_load_b32 v25, v1
	ds_load_b32 v26, v18
	v_mov_b32_e32 v22, v10
	v_ashrrev_i32_e32 v1, 31, v0
	s_delay_alu instid0(VALU_DEP_1) | instskip(SKIP_1) | instid1(VALU_DEP_2)
	v_lshlrev_b64 v[23:24], 2, v[0:1]
	v_mov_b32_e32 v0, v6
	v_add_co_u32 v23, s3, v19, v23
	s_delay_alu instid0(VALU_DEP_1)
	v_add_co_ci_u32_e64 v24, s3, v20, v24, s3
	s_waitcnt lgkmcnt(0)
	v_dual_mul_f32 v25, v25, v26 :: v_dual_mov_b32 v26, v4
	.p2align	6
.LBB9_26:                               ;   Parent Loop BB9_15 Depth=1
                                        ;     Parent Loop BB9_18 Depth=2
                                        ;       Parent Loop BB9_21 Depth=3
                                        ;         Parent Loop BB9_24 Depth=4
                                        ; =>        This Inner Loop Header: Depth=5
	v_ashrrev_i32_e32 v1, 31, v0
	s_delay_alu instid0(VALU_DEP_1) | instskip(SKIP_1) | instid1(VALU_DEP_2)
	v_lshlrev_b64 v[27:28], 2, v[0:1]
	v_add_nc_u32_e32 v0, s17, v0
	v_add_co_u32 v27, s3, v23, v27
	s_delay_alu instid0(VALU_DEP_1) | instskip(SKIP_4) | instid1(VALU_DEP_1)
	v_add_co_ci_u32_e64 v28, s3, v24, v28, s3
	global_load_b32 v1, v[27:28], off
	ds_load_b32 v27, v22
	s_waitcnt vmcnt(0) lgkmcnt(0)
	v_dual_fmac_f32 v27, v25, v1 :: v_dual_add_nc_u32 v26, s11, v26
	v_cmp_le_i32_e64 s3, s5, v26
	ds_store_b32 v22, v27
	v_add_nc_u32_e32 v22, s24, v22
	s_or_b32 s33, s3, s33
	s_delay_alu instid0(SALU_CYCLE_1)
	s_and_not1_b32 exec_lo, exec_lo, s33
	s_cbranch_execnz .LBB9_26
	s_branch .LBB9_23
.LBB9_27:                               ;   in Loop: Header=BB9_18 Depth=2
	s_or_b32 exec_lo, exec_lo, s27
	s_and_saveexec_b32 s27, vcc_lo
	s_cbranch_execz .LBB9_17
; %bb.28:                               ;   in Loop: Header=BB9_18 Depth=2
	v_add_nc_u32_e32 v0, v14, v13
	v_mov_b32_e32 v15, v10
	s_mov_b32 s28, 0
	s_delay_alu instid0(VALU_DEP_2) | instskip(NEXT) | instid1(VALU_DEP_1)
	v_mul_lo_u32 v0, v0, s5
	v_ashrrev_i32_e32 v1, 31, v0
	s_delay_alu instid0(VALU_DEP_1) | instskip(NEXT) | instid1(VALU_DEP_1)
	v_lshlrev_b64 v[0:1], 2, v[0:1]
	v_add_co_u32 v16, s2, s4, v0
	v_mov_b32_e32 v0, v4
	s_delay_alu instid0(VALU_DEP_3)
	v_add_co_ci_u32_e64 v17, s2, s13, v1, s2
	.p2align	6
.LBB9_29:                               ;   Parent Loop BB9_15 Depth=1
                                        ;     Parent Loop BB9_18 Depth=2
                                        ; =>    This Inner Loop Header: Depth=3
	ds_load_b32 v20, v15
	v_ashrrev_i32_e32 v1, 31, v0
	ds_store_b32 v15, v7
	v_add_nc_u32_e32 v15, s24, v15
	v_lshlrev_b64 v[18:19], 2, v[0:1]
	v_add_nc_u32_e32 v0, s11, v0
	s_delay_alu instid0(VALU_DEP_1) | instskip(NEXT) | instid1(VALU_DEP_3)
	v_cmp_le_i32_e64 s2, s5, v0
	v_add_co_u32 v18, s3, v16, v18
	s_delay_alu instid0(VALU_DEP_1) | instskip(NEXT) | instid1(VALU_DEP_3)
	v_add_co_ci_u32_e64 v19, s3, v17, v19, s3
	s_or_b32 s28, s2, s28
	s_waitcnt lgkmcnt(1)
	global_store_b32 v[18:19], v20, off
	s_and_not1_b32 exec_lo, exec_lo, s28
	s_cbranch_execnz .LBB9_29
	s_branch .LBB9_17
.LBB9_30:
	s_nop 0
	s_sendmsg sendmsg(MSG_DEALLOC_VGPRS)
	s_endpgm
	.section	.rodata,"a",@progbits
	.p2align	6, 0x0
	.amdhsa_kernel _ZN2at6native12_GLOBAL__N_131adaptive_average_gradinput_nhwcIifEEvPT0_PKS3_iiiiiiiiT_S7_S7_S7_
		.amdhsa_group_segment_fixed_size 0
		.amdhsa_private_segment_fixed_size 0
		.amdhsa_kernarg_size 320
		.amdhsa_user_sgpr_count 13
		.amdhsa_user_sgpr_dispatch_ptr 0
		.amdhsa_user_sgpr_queue_ptr 0
		.amdhsa_user_sgpr_kernarg_segment_ptr 1
		.amdhsa_user_sgpr_dispatch_id 0
		.amdhsa_user_sgpr_private_segment_size 0
		.amdhsa_wavefront_size32 1
		.amdhsa_uses_dynamic_stack 0
		.amdhsa_enable_private_segment 0
		.amdhsa_system_sgpr_workgroup_id_x 1
		.amdhsa_system_sgpr_workgroup_id_y 1
		.amdhsa_system_sgpr_workgroup_id_z 1
		.amdhsa_system_sgpr_workgroup_info 0
		.amdhsa_system_vgpr_workitem_id 2
		.amdhsa_next_free_vgpr 29
		.amdhsa_next_free_sgpr 35
		.amdhsa_reserve_vcc 1
		.amdhsa_float_round_mode_32 0
		.amdhsa_float_round_mode_16_64 0
		.amdhsa_float_denorm_mode_32 3
		.amdhsa_float_denorm_mode_16_64 3
		.amdhsa_dx10_clamp 1
		.amdhsa_ieee_mode 1
		.amdhsa_fp16_overflow 0
		.amdhsa_workgroup_processor_mode 1
		.amdhsa_memory_ordered 1
		.amdhsa_forward_progress 0
		.amdhsa_shared_vgpr_count 0
		.amdhsa_exception_fp_ieee_invalid_op 0
		.amdhsa_exception_fp_denorm_src 0
		.amdhsa_exception_fp_ieee_div_zero 0
		.amdhsa_exception_fp_ieee_overflow 0
		.amdhsa_exception_fp_ieee_underflow 0
		.amdhsa_exception_fp_ieee_inexact 0
		.amdhsa_exception_int_div_zero 0
	.end_amdhsa_kernel
	.section	.text._ZN2at6native12_GLOBAL__N_131adaptive_average_gradinput_nhwcIifEEvPT0_PKS3_iiiiiiiiT_S7_S7_S7_,"axG",@progbits,_ZN2at6native12_GLOBAL__N_131adaptive_average_gradinput_nhwcIifEEvPT0_PKS3_iiiiiiiiT_S7_S7_S7_,comdat
.Lfunc_end9:
	.size	_ZN2at6native12_GLOBAL__N_131adaptive_average_gradinput_nhwcIifEEvPT0_PKS3_iiiiiiiiT_S7_S7_S7_, .Lfunc_end9-_ZN2at6native12_GLOBAL__N_131adaptive_average_gradinput_nhwcIifEEvPT0_PKS3_iiiiiiiiT_S7_S7_S7_
                                        ; -- End function
	.section	.AMDGPU.csdata,"",@progbits
; Kernel info:
; codeLenInByte = 3308
; NumSgprs: 37
; NumVgprs: 29
; ScratchSize: 0
; MemoryBound: 0
; FloatMode: 240
; IeeeMode: 1
; LDSByteSize: 0 bytes/workgroup (compile time only)
; SGPRBlocks: 4
; VGPRBlocks: 3
; NumSGPRsForWavesPerEU: 37
; NumVGPRsForWavesPerEU: 29
; Occupancy: 16
; WaveLimiterHint : 0
; COMPUTE_PGM_RSRC2:SCRATCH_EN: 0
; COMPUTE_PGM_RSRC2:USER_SGPR: 13
; COMPUTE_PGM_RSRC2:TRAP_HANDLER: 0
; COMPUTE_PGM_RSRC2:TGID_X_EN: 1
; COMPUTE_PGM_RSRC2:TGID_Y_EN: 1
; COMPUTE_PGM_RSRC2:TGID_Z_EN: 1
; COMPUTE_PGM_RSRC2:TIDIG_COMP_CNT: 2
	.section	.text._ZN2at6native12_GLOBAL__N_131adaptive_average_gradinput_nhwcIiN3c104HalfEEEvPT0_PKS5_iiiiiiiiT_S9_S9_S9_,"axG",@progbits,_ZN2at6native12_GLOBAL__N_131adaptive_average_gradinput_nhwcIiN3c104HalfEEEvPT0_PKS5_iiiiiiiiT_S9_S9_S9_,comdat
	.globl	_ZN2at6native12_GLOBAL__N_131adaptive_average_gradinput_nhwcIiN3c104HalfEEEvPT0_PKS5_iiiiiiiiT_S9_S9_S9_ ; -- Begin function _ZN2at6native12_GLOBAL__N_131adaptive_average_gradinput_nhwcIiN3c104HalfEEEvPT0_PKS5_iiiiiiiiT_S9_S9_S9_
	.p2align	8
	.type	_ZN2at6native12_GLOBAL__N_131adaptive_average_gradinput_nhwcIiN3c104HalfEEEvPT0_PKS5_iiiiiiiiT_S9_S9_S9_,@function
_ZN2at6native12_GLOBAL__N_131adaptive_average_gradinput_nhwcIiN3c104HalfEEEvPT0_PKS5_iiiiiiiiT_S9_S9_S9_: ; @_ZN2at6native12_GLOBAL__N_131adaptive_average_gradinput_nhwcIiN3c104HalfEEEvPT0_PKS5_iiiiiiiiT_S9_S9_S9_
; %bb.0:
	s_clause 0x3
	s_load_b128 s[20:23], s[0:1], 0x44
	s_load_b256 s[4:11], s[0:1], 0x10
	s_load_b128 s[16:19], s[0:1], 0x30
	s_load_b128 s[24:27], s[0:1], 0x0
	v_bfe_u32 v1, v0, 10, 10
	v_bfe_u32 v2, v0, 20, 10
	v_and_b32_e32 v0, 0x3ff, v0
	s_mov_b32 s1, exec_lo
	s_waitcnt lgkmcnt(0)
	s_lshr_b32 s12, s22, 16
	s_and_b32 s3, s22, 0xffff
	v_mad_u32_u24 v9, v2, s12, v1
	s_and_b32 s22, s23, 0xffff
	s_mul_i32 s23, s12, s3
	s_delay_alu instid0(SALU_CYCLE_1) | instskip(NEXT) | instid1(VALU_DEP_1)
	s_mul_i32 s23, s23, s22
	v_mad_u64_u32 v[3:4], null, v9, s3, v[0:1]
	s_delay_alu instid0(VALU_DEP_1)
	v_cmpx_gt_i32_e64 s7, v3
	s_cbranch_execz .LBB10_3
; %bb.1:
	s_abs_i32 s2, s7
	s_add_i32 s31, s7, s9
	v_cvt_f32_u32_e32 v4, s2
	s_sub_i32 s0, 0, s2
	s_ashr_i32 s28, s7, 31
	s_mov_b32 s29, 0
	s_lshl_b32 s33, s7, 2
	v_rcp_iflag_f32_e32 v4, v4
	s_mov_b32 s34, 0
	s_waitcnt_depctr 0xfff
	v_mul_f32_e32 v4, 0x4f7ffffe, v4
	s_delay_alu instid0(VALU_DEP_1) | instskip(SKIP_1) | instid1(VALU_DEP_2)
	v_cvt_u32_f32_e32 v7, v4
	v_mul_lo_u32 v4, s9, v3
	v_mul_lo_u32 v5, s0, v7
	s_mul_i32 s0, s9, s12
	s_delay_alu instid0(SALU_CYCLE_1) | instskip(NEXT) | instid1(VALU_DEP_2)
	s_mul_i32 s30, s0, s3
	v_add3_u32 v6, s31, v4, -1
	s_mul_i32 s30, s30, s22
	s_lshl_b32 s31, s23, 2
	s_delay_alu instid0(VALU_DEP_2) | instskip(SKIP_1) | instid1(VALU_DEP_2)
	v_mul_hi_u32 v8, v7, v5
	v_lshl_add_u32 v5, v3, 2, 0
	v_add_nc_u32_e32 v7, v7, v8
	v_mov_b32_e32 v8, v3
.LBB10_2:                               ; =>This Inner Loop Header: Depth=1
	v_add_nc_u32_e32 v10, s34, v4
	s_delay_alu instid0(VALU_DEP_2) | instskip(NEXT) | instid1(VALU_DEP_2)
	v_add_nc_u32_e32 v8, s23, v8
	v_sub_nc_u32_e32 v12, 0, v10
	v_ashrrev_i32_e32 v13, 31, v10
	s_delay_alu instid0(VALU_DEP_2) | instskip(NEXT) | instid1(VALU_DEP_2)
	v_max_i32_e32 v10, v10, v12
	v_xor_b32_e32 v12, s28, v13
	s_delay_alu instid0(VALU_DEP_2) | instskip(NEXT) | instid1(VALU_DEP_1)
	v_mul_hi_u32 v13, v10, v7
	v_mul_lo_u32 v16, v13, s2
	v_add_nc_u32_e32 v18, 1, v13
	s_delay_alu instid0(VALU_DEP_2) | instskip(NEXT) | instid1(VALU_DEP_1)
	v_sub_nc_u32_e32 v10, v10, v16
	v_subrev_nc_u32_e32 v16, s2, v10
	v_cmp_le_u32_e32 vcc_lo, s2, v10
	v_add_nc_u32_e32 v11, s34, v6
	s_add_i32 s34, s34, s30
	s_delay_alu instid0(VALU_DEP_3) | instskip(NEXT) | instid1(VALU_DEP_2)
	v_cndmask_b32_e32 v10, v10, v16, vcc_lo
	v_sub_nc_u32_e32 v14, 0, v11
	v_ashrrev_i32_e32 v15, 31, v11
	v_cndmask_b32_e32 v13, v13, v18, vcc_lo
	s_delay_alu instid0(VALU_DEP_4) | instskip(NEXT) | instid1(VALU_DEP_4)
	v_cmp_le_u32_e32 vcc_lo, s2, v10
	v_max_i32_e32 v11, v11, v14
	s_delay_alu instid0(VALU_DEP_3) | instskip(NEXT) | instid1(VALU_DEP_2)
	v_add_nc_u32_e32 v16, 1, v13
	v_mul_hi_u32 v14, v11, v7
	s_delay_alu instid0(VALU_DEP_2) | instskip(SKIP_1) | instid1(VALU_DEP_2)
	v_cndmask_b32_e32 v10, v13, v16, vcc_lo
	v_xor_b32_e32 v13, s28, v15
	v_xor_b32_e32 v10, v10, v12
	s_delay_alu instid0(VALU_DEP_4) | instskip(SKIP_1) | instid1(VALU_DEP_3)
	v_mul_lo_u32 v17, v14, s2
	v_add_nc_u32_e32 v19, 1, v14
	v_sub_nc_u32_e32 v10, v10, v12
	v_add_nc_u32_e32 v12, s33, v5
	s_delay_alu instid0(VALU_DEP_4) | instskip(SKIP_4) | instid1(VALU_DEP_1)
	v_sub_nc_u32_e32 v11, v11, v17
	ds_store_b32 v5, v10
	v_add_nc_u32_e32 v5, s31, v5
	v_subrev_nc_u32_e32 v17, s2, v11
	v_cmp_le_u32_e64 s0, s2, v11
	v_cndmask_b32_e64 v14, v14, v19, s0
	s_delay_alu instid0(VALU_DEP_3) | instskip(NEXT) | instid1(VALU_DEP_2)
	v_cndmask_b32_e64 v11, v11, v17, s0
	v_add_nc_u32_e32 v17, 1, v14
	s_delay_alu instid0(VALU_DEP_2) | instskip(NEXT) | instid1(VALU_DEP_2)
	v_cmp_le_u32_e32 vcc_lo, s2, v11
	v_cndmask_b32_e32 v11, v14, v17, vcc_lo
	v_cmp_le_i32_e32 vcc_lo, s7, v8
	s_delay_alu instid0(VALU_DEP_2) | instskip(SKIP_1) | instid1(VALU_DEP_1)
	v_xor_b32_e32 v11, v11, v13
	s_or_b32 s29, vcc_lo, s29
	v_sub_nc_u32_e32 v11, v11, v13
	ds_store_b32 v12, v11
	s_and_not1_b32 exec_lo, exec_lo, s29
	s_cbranch_execnz .LBB10_2
.LBB10_3:
	s_or_b32 exec_lo, exec_lo, s1
	v_cvt_f32_u32_e32 v4, s23
	v_add_nc_u32_e32 v5, s22, v2
	s_mov_b32 s28, exec_lo
	s_delay_alu instid0(VALU_DEP_2) | instskip(NEXT) | instid1(VALU_DEP_1)
	v_rcp_iflag_f32_e32 v10, v4
	v_mad_u32_u24 v11, v5, s12, v1
	v_cmpx_gt_i32_e64 s8, v3
	s_cbranch_execz .LBB10_13
; %bb.4:
	s_delay_alu instid0(VALU_DEP_2)
	v_mul_lo_u32 v5, v11, s3
	s_waitcnt_depctr 0xfff
	v_mul_f32_e32 v4, 0x4f7ffffe, v10
	s_sub_i32 s0, 0, s23
                                        ; implicit-def: $sgpr35
                                        ; implicit-def: $sgpr29
                                        ; implicit-def: $sgpr33
                                        ; implicit-def: $sgpr34
                                        ; implicit-def: $sgpr31
	s_mov_b32 s1, exec_lo
	v_add_nc_u32_e32 v7, v0, v5
	s_delay_alu instid0(VALU_DEP_2) | instskip(NEXT) | instid1(VALU_DEP_2)
	v_cvt_u32_f32_e32 v4, v4
	v_cmp_gt_i32_e32 vcc_lo, s8, v7
	s_delay_alu instid0(VALU_DEP_2) | instskip(SKIP_2) | instid1(VALU_DEP_3)
	v_mul_lo_u32 v6, s0, v4
	v_max_i32_e32 v8, s8, v7
	v_add_co_ci_u32_e64 v5, s0, v0, v5, vcc_lo
	v_mul_hi_u32 v6, v4, v6
	s_delay_alu instid0(VALU_DEP_2) | instskip(NEXT) | instid1(VALU_DEP_2)
	v_sub_nc_u32_e32 v5, v8, v5
	v_add_nc_u32_e32 v4, v4, v6
	s_delay_alu instid0(VALU_DEP_1) | instskip(NEXT) | instid1(VALU_DEP_1)
	v_mul_hi_u32 v4, v5, v4
	v_mul_lo_u32 v6, v4, s23
	s_delay_alu instid0(VALU_DEP_1) | instskip(SKIP_1) | instid1(VALU_DEP_2)
	v_sub_nc_u32_e32 v5, v5, v6
	v_add_nc_u32_e32 v6, 1, v4
	v_subrev_nc_u32_e32 v7, s23, v5
	v_cmp_le_u32_e64 s0, s23, v5
	s_delay_alu instid0(VALU_DEP_1) | instskip(NEXT) | instid1(VALU_DEP_3)
	v_cndmask_b32_e64 v4, v4, v6, s0
	v_cndmask_b32_e64 v5, v5, v7, s0
                                        ; implicit-def: $vgpr7
	s_delay_alu instid0(VALU_DEP_2) | instskip(NEXT) | instid1(VALU_DEP_2)
	v_add_nc_u32_e32 v6, 1, v4
	v_cmp_le_u32_e64 s0, s23, v5
	s_delay_alu instid0(VALU_DEP_1) | instskip(SKIP_1) | instid1(VALU_DEP_1)
	v_cndmask_b32_e64 v4, v4, v6, s0
	s_mov_b32 s0, 0
                                        ; implicit-def: $vgpr5_vgpr6
	v_add_co_ci_u32_e32 v12, vcc_lo, 1, v4, vcc_lo
	s_delay_alu instid0(VALU_DEP_1)
	v_cmpx_lt_u32_e32 1, v12
	s_xor_b32 s30, exec_lo, s1
	s_cbranch_execz .LBB10_8
; %bb.5:
	s_abs_i32 s29, s8
	v_dual_mov_b32 v6, 0 :: v_dual_and_b32 v13, -2, v12
	v_cvt_f32_u32_e32 v4, s29
	s_sub_i32 s0, 0, s29
	s_lshl_b32 s33, s7, 3
	s_lshl_b32 s34, s9, 1
	s_add_i32 s36, s8, -1
	v_rcp_iflag_f32_e32 v4, v4
	s_lshl_b32 s31, s23, 1
	s_mov_b32 s37, s6
	s_mov_b32 s38, s6
	s_mov_b32 s39, s31
	s_mov_b32 s40, s36
	s_ashr_i32 s35, s8, 31
	s_mov_b32 s41, 0
	s_lshl_b32 s42, s23, 2
	s_waitcnt_depctr 0xfff
	v_dual_mov_b32 v15, v13 :: v_dual_mul_f32 v4, 0x4f7ffffe, v4
	s_delay_alu instid0(VALU_DEP_1) | instskip(SKIP_2) | instid1(VALU_DEP_3)
	v_cvt_u32_f32_e32 v5, v4
	v_add_nc_u32_e32 v4, s23, v3
	v_lshlrev_b32_e32 v8, 1, v3
	v_mul_lo_u32 v7, s0, v5
	s_add_i32 s0, s33, s34
	s_delay_alu instid0(VALU_DEP_2) | instid1(SALU_CYCLE_1)
	v_add3_u32 v14, 0, s0, v8
	s_delay_alu instid0(VALU_DEP_2) | instskip(NEXT) | instid1(VALU_DEP_1)
	v_mul_hi_u32 v7, v5, v7
	v_dual_mov_b32 v8, v4 :: v_dual_add_nc_u32 v5, v5, v7
	v_mov_b32_e32 v7, v3
.LBB10_6:                               ; =>This Inner Loop Header: Depth=1
	s_delay_alu instid0(VALU_DEP_2) | instskip(NEXT) | instid1(VALU_DEP_2)
	v_mul_lo_u32 v4, v8, s38
	v_mul_lo_u32 v16, v7, s37
	v_add_nc_u32_e32 v8, s39, v8
	v_add_nc_u32_e32 v7, s31, v7
	v_add_nc_u32_e32 v15, -2, v15
	v_add3_u32 v17, s40, s38, v4
	v_add3_u32 v18, s36, s37, v16
	v_sub_nc_u32_e32 v20, 0, v16
	v_sub_nc_u32_e32 v22, 0, v4
	v_ashrrev_i32_e32 v19, 31, v16
	v_sub_nc_u32_e32 v26, 0, v17
	v_ashrrev_i32_e32 v21, 31, v4
	v_ashrrev_i32_e32 v23, 31, v18
	;; [unrolled: 1-line block ×3, first 2 shown]
	v_max_i32_e32 v16, v16, v20
	v_max_i32_e32 v4, v4, v22
	;; [unrolled: 1-line block ×3, first 2 shown]
	v_xor_b32_e32 v20, s35, v21
	v_xor_b32_e32 v22, s35, v23
	v_mul_hi_u32 v21, v16, v5
	v_mul_hi_u32 v23, v4, v5
	;; [unrolled: 1-line block ×3, first 2 shown]
	v_sub_nc_u32_e32 v24, 0, v18
	v_xor_b32_e32 v19, s35, v19
	v_mul_lo_u32 v27, v21, s29
	v_mul_lo_u32 v29, v23, s29
	;; [unrolled: 1-line block ×3, first 2 shown]
	v_max_i32_e32 v18, v18, v24
	v_xor_b32_e32 v24, s35, v25
	v_add_nc_u32_e32 v34, 1, v26
	s_delay_alu instid0(VALU_DEP_3) | instskip(SKIP_3) | instid1(VALU_DEP_3)
	v_mul_hi_u32 v25, v18, v5
	v_sub_nc_u32_e32 v16, v16, v27
	v_sub_nc_u32_e32 v4, v4, v29
	;; [unrolled: 1-line block ×3, first 2 shown]
	v_cmp_le_u32_e32 vcc_lo, s29, v16
	v_add_nc_u32_e32 v30, 1, v23
	s_delay_alu instid0(VALU_DEP_4) | instskip(NEXT) | instid1(VALU_DEP_4)
	v_cmp_le_u32_e64 s0, s29, v4
	v_cmp_le_u32_e64 s2, s29, v17
	v_mul_lo_u32 v31, v25, s29
	v_subrev_nc_u32_e32 v27, s29, v16
	v_add_nc_u32_e32 v33, 1, v25
	v_cndmask_b32_e64 v23, v23, v30, s0
	v_cndmask_b32_e64 v26, v26, v34, s2
	v_subrev_nc_u32_e32 v30, s29, v17
	v_cndmask_b32_e32 v16, v16, v27, vcc_lo
	v_sub_nc_u32_e32 v18, v18, v31
	s_delay_alu instid0(VALU_DEP_3) | instskip(SKIP_2) | instid1(VALU_DEP_4)
	v_cndmask_b32_e64 v17, v17, v30, s2
	v_add_nc_u32_e32 v30, 1, v26
	v_add_nc_u32_e32 v28, 1, v21
	v_cmp_le_u32_e64 s1, s29, v18
	v_subrev_nc_u32_e32 v29, s29, v18
	s_delay_alu instid0(VALU_DEP_3) | instskip(SKIP_1) | instid1(VALU_DEP_4)
	v_cndmask_b32_e32 v21, v21, v28, vcc_lo
	v_subrev_nc_u32_e32 v28, s29, v4
	v_cndmask_b32_e64 v25, v25, v33, s1
	v_cmp_le_u32_e32 vcc_lo, s29, v16
	v_cndmask_b32_e64 v18, v18, v29, s1
	s_delay_alu instid0(VALU_DEP_4) | instskip(SKIP_2) | instid1(VALU_DEP_1)
	v_cndmask_b32_e64 v4, v4, v28, s0
	v_add_nc_u32_e32 v28, 1, v23
	v_add_nc_u32_e32 v27, 1, v21
	v_dual_cndmask_b32 v16, v21, v27 :: v_dual_add_nc_u32 v29, 1, v25
	s_delay_alu instid0(VALU_DEP_4) | instskip(NEXT) | instid1(VALU_DEP_2)
	v_cmp_le_u32_e32 vcc_lo, s29, v4
	v_xor_b32_e32 v16, v16, v19
	v_cndmask_b32_e32 v4, v23, v28, vcc_lo
	v_cmp_le_u32_e32 vcc_lo, s29, v18
	s_delay_alu instid0(VALU_DEP_3) | instskip(NEXT) | instid1(VALU_DEP_3)
	v_sub_nc_u32_e32 v16, v19, v16
	v_xor_b32_e32 v4, v4, v20
	v_cndmask_b32_e32 v18, v25, v29, vcc_lo
	v_cmp_le_u32_e32 vcc_lo, s29, v17
	s_delay_alu instid0(VALU_DEP_3) | instskip(NEXT) | instid1(VALU_DEP_3)
	v_sub_nc_u32_e32 v4, v20, v4
	v_xor_b32_e32 v18, v18, v22
	v_cndmask_b32_e32 v17, v26, v30, vcc_lo
	v_cmp_eq_u32_e32 vcc_lo, 0, v15
	s_delay_alu instid0(VALU_DEP_3) | instskip(NEXT) | instid1(VALU_DEP_3)
	v_sub_nc_u32_e32 v18, v18, v22
	v_xor_b32_e32 v17, v17, v24
	s_or_b32 s41, vcc_lo, s41
	s_delay_alu instid0(VALU_DEP_2) | instskip(NEXT) | instid1(VALU_DEP_2)
	v_add_nc_u32_e32 v16, v18, v16
	v_sub_nc_u32_e32 v17, v17, v24
	s_delay_alu instid0(VALU_DEP_2) | instskip(NEXT) | instid1(VALU_DEP_2)
	v_cvt_f32_i32_e32 v16, v16
	v_add_nc_u32_e32 v4, v17, v4
	v_add_nc_u32_e32 v17, s31, v14
	s_delay_alu instid0(VALU_DEP_3) | instskip(NEXT) | instid1(VALU_DEP_3)
	v_cvt_f16_f32_e32 v16, v16
	v_cvt_f32_i32_e32 v4, v4
	s_delay_alu instid0(VALU_DEP_2) | instskip(NEXT) | instid1(VALU_DEP_1)
	v_rcp_f16_e32 v16, v16
	v_cvt_f16_f32_e32 v4, v4
	s_delay_alu instid0(VALU_DEP_1)
	v_rcp_f16_e32 v4, v4
	ds_store_b16 v14, v16
	v_add_nc_u32_e32 v14, s42, v14
	ds_store_b16 v17, v4
	s_and_not1_b32 exec_lo, exec_lo, s41
	s_cbranch_execnz .LBB10_6
; %bb.7:
	s_or_b32 exec_lo, exec_lo, s41
	v_mad_u64_u32 v[7:8], null, v13, s23, v[3:4]
	v_cmp_ne_u32_e32 vcc_lo, v12, v13
	s_and_b32 s0, vcc_lo, exec_lo
.LBB10_8:
	s_or_saveexec_b32 s1, s30
	v_dual_mov_b32 v4, s35 :: v_dual_mov_b32 v15, s34
	v_mov_b32_e32 v8, s29
	v_mov_b32_e32 v14, s33
	;; [unrolled: 1-line block ×3, first 2 shown]
	s_xor_b32 exec_lo, exec_lo, s1
	s_cbranch_execz .LBB10_10
; %bb.9:
	s_abs_i32 s2, s8
	s_lshl_b32 s31, s9, 1
	v_cvt_f32_u32_e32 v4, s2
	s_sub_i32 s29, 0, s2
	s_lshl_b32 s30, s7, 3
	s_lshl_b32 s33, s23, 1
	v_mov_b32_e32 v8, s2
	v_rcp_iflag_f32_e32 v4, v4
	v_mov_b32_e32 v14, s30
	v_mov_b32_e32 v12, s33
	s_or_b32 s0, s0, exec_lo
	s_waitcnt_depctr 0xfff
	v_dual_mov_b32 v15, s31 :: v_dual_mul_f32 v4, 0x4f7ffffe, v4
	s_delay_alu instid0(VALU_DEP_1) | instskip(NEXT) | instid1(VALU_DEP_1)
	v_cvt_u32_f32_e32 v5, v4
	v_mul_lo_u32 v4, s29, v5
	s_ashr_i32 s29, s8, 31
	s_delay_alu instid0(VALU_DEP_1) | instskip(SKIP_1) | instid1(VALU_DEP_2)
	v_mul_hi_u32 v7, v5, v4
	v_mov_b32_e32 v6, 0
	v_dual_mov_b32 v4, s29 :: v_dual_add_nc_u32 v5, v5, v7
	v_mov_b32_e32 v7, v3
.LBB10_10:
	s_or_b32 exec_lo, exec_lo, s1
	s_delay_alu instid0(SALU_CYCLE_1)
	s_and_b32 exec_lo, exec_lo, s0
	s_cbranch_execz .LBB10_13
; %bb.11:
	s_delay_alu instid0(VALU_DEP_1)
	v_mul_lo_u32 v13, v7, s6
	v_lshl_add_u32 v16, v7, 1, v14
	s_add_i32 s1, s8, s6
	s_mul_i32 s0, s6, s12
	s_mov_b32 s2, 0
	s_mul_i32 s0, s0, s3
	v_add3_u32 v15, v16, v15, 0
	s_mov_b32 s29, 0
	v_add3_u32 v14, s1, v13, -1
	s_mul_i32 s1, s0, s22
.LBB10_12:                              ; =>This Inner Loop Header: Depth=1
	s_delay_alu instid0(VALU_DEP_1) | instskip(SKIP_3) | instid1(VALU_DEP_3)
	v_add_nc_u32_e32 v16, s29, v14
	v_add_nc_u32_e32 v17, s29, v13
	;; [unrolled: 1-line block ×3, first 2 shown]
	s_add_i32 s29, s29, s1
	v_sub_nc_u32_e32 v18, 0, v16
	s_delay_alu instid0(VALU_DEP_3) | instskip(SKIP_2) | instid1(VALU_DEP_4)
	v_sub_nc_u32_e32 v20, 0, v17
	v_ashrrev_i32_e32 v19, 31, v16
	v_ashrrev_i32_e32 v21, 31, v17
	v_max_i32_e32 v22, v16, v18
	s_delay_alu instid0(VALU_DEP_4) | instskip(NEXT) | instid1(VALU_DEP_4)
	v_max_i32_e32 v23, v17, v20
	v_xor_b32_e32 v24, v19, v4
	s_delay_alu instid0(VALU_DEP_3) | instskip(NEXT) | instid1(VALU_DEP_3)
	v_mul_hi_u32 v16, v22, v5
	v_mul_hi_u32 v17, v23, v5
	s_delay_alu instid0(VALU_DEP_1) | instskip(SKIP_1) | instid1(VALU_DEP_2)
	v_mad_u64_u32 v[18:19], null, v22, v6, v[16:17]
	v_xor_b32_e32 v16, v21, v4
	v_mad_u64_u32 v[19:20], null, v23, v6, v[17:18]
	v_mul_lo_u32 v17, v18, v8
	v_add_nc_u32_e32 v21, 1, v18
	s_delay_alu instid0(VALU_DEP_3) | instskip(NEXT) | instid1(VALU_DEP_3)
	v_mul_lo_u32 v20, v19, v8
	v_sub_nc_u32_e32 v17, v22, v17
	s_delay_alu instid0(VALU_DEP_1) | instskip(SKIP_1) | instid1(VALU_DEP_4)
	v_cmp_ge_u32_e32 vcc_lo, v17, v8
	v_add_nc_u32_e32 v25, 1, v19
	v_sub_nc_u32_e32 v20, v23, v20
	v_cndmask_b32_e32 v18, v18, v21, vcc_lo
	v_sub_nc_u32_e32 v21, v17, v8
	s_delay_alu instid0(VALU_DEP_3) | instskip(SKIP_1) | instid1(VALU_DEP_3)
	v_sub_nc_u32_e32 v22, v20, v8
	v_cmp_ge_u32_e64 s0, v20, v8
	v_cndmask_b32_e32 v17, v17, v21, vcc_lo
	v_add_nc_u32_e32 v21, 1, v18
	s_delay_alu instid0(VALU_DEP_3) | instskip(SKIP_1) | instid1(VALU_DEP_4)
	v_cndmask_b32_e64 v19, v19, v25, s0
	v_cndmask_b32_e64 v20, v20, v22, s0
	v_cmp_ge_u32_e32 vcc_lo, v17, v8
	s_delay_alu instid0(VALU_DEP_3) | instskip(NEXT) | instid1(VALU_DEP_3)
	v_dual_cndmask_b32 v17, v18, v21 :: v_dual_add_nc_u32 v22, 1, v19
	v_cmp_ge_u32_e32 vcc_lo, v20, v8
	s_delay_alu instid0(VALU_DEP_2) | instskip(NEXT) | instid1(VALU_DEP_3)
	v_xor_b32_e32 v17, v17, v24
	v_cndmask_b32_e32 v18, v19, v22, vcc_lo
	v_cmp_le_i32_e32 vcc_lo, s8, v7
	s_delay_alu instid0(VALU_DEP_3) | instskip(NEXT) | instid1(VALU_DEP_3)
	v_sub_nc_u32_e32 v17, v17, v24
	v_xor_b32_e32 v18, v18, v16
	s_or_b32 s2, vcc_lo, s2
	s_delay_alu instid0(VALU_DEP_1) | instskip(NEXT) | instid1(VALU_DEP_1)
	v_sub_nc_u32_e32 v16, v16, v18
	v_add_nc_u32_e32 v16, v17, v16
	s_delay_alu instid0(VALU_DEP_1) | instskip(NEXT) | instid1(VALU_DEP_1)
	v_cvt_f32_i32_e32 v16, v16
	v_cvt_f16_f32_e32 v16, v16
	s_delay_alu instid0(VALU_DEP_1)
	v_rcp_f16_e32 v16, v16
	ds_store_b16 v15, v16
	v_add_nc_u32_e32 v15, v15, v12
	s_and_not1_b32 exec_lo, exec_lo, s2
	s_cbranch_execnz .LBB10_12
.LBB10_13:
	s_or_b32 exec_lo, exec_lo, s28
	s_delay_alu instid0(SALU_CYCLE_1)
	s_mov_b32 s28, exec_lo
	v_cmpx_gt_i32_e64 s9, v3
	s_cbranch_execz .LBB10_23
; %bb.14:
	v_mul_lo_u32 v5, v11, s3
	s_waitcnt_depctr 0xfff
	v_mul_f32_e32 v4, 0x4f7ffffe, v10
	s_sub_i32 s0, 0, s23
                                        ; implicit-def: $sgpr34
                                        ; implicit-def: $sgpr30
                                        ; implicit-def: $sgpr33
                                        ; implicit-def: $sgpr31
	s_mov_b32 s1, exec_lo
	v_add_nc_u32_e32 v7, v0, v5
	s_delay_alu instid0(VALU_DEP_2) | instskip(NEXT) | instid1(VALU_DEP_2)
	v_cvt_u32_f32_e32 v4, v4
	v_cmp_gt_i32_e32 vcc_lo, s9, v7
	s_delay_alu instid0(VALU_DEP_2) | instskip(SKIP_2) | instid1(VALU_DEP_3)
	v_mul_lo_u32 v6, s0, v4
	v_max_i32_e32 v8, s9, v7
	v_add_co_ci_u32_e64 v5, s0, v0, v5, vcc_lo
	v_mul_hi_u32 v6, v4, v6
	s_delay_alu instid0(VALU_DEP_2) | instskip(NEXT) | instid1(VALU_DEP_2)
	v_sub_nc_u32_e32 v5, v8, v5
	v_add_nc_u32_e32 v4, v4, v6
	s_delay_alu instid0(VALU_DEP_1) | instskip(NEXT) | instid1(VALU_DEP_1)
	v_mul_hi_u32 v4, v5, v4
	v_mul_lo_u32 v6, v4, s23
	s_delay_alu instid0(VALU_DEP_1) | instskip(SKIP_1) | instid1(VALU_DEP_2)
	v_sub_nc_u32_e32 v5, v5, v6
	v_add_nc_u32_e32 v6, 1, v4
	v_subrev_nc_u32_e32 v7, s23, v5
	v_cmp_le_u32_e64 s0, s23, v5
	s_delay_alu instid0(VALU_DEP_1) | instskip(NEXT) | instid1(VALU_DEP_3)
	v_cndmask_b32_e64 v4, v4, v6, s0
	v_cndmask_b32_e64 v5, v5, v7, s0
                                        ; implicit-def: $vgpr7
	s_delay_alu instid0(VALU_DEP_2) | instskip(NEXT) | instid1(VALU_DEP_2)
	v_add_nc_u32_e32 v6, 1, v4
	v_cmp_le_u32_e64 s0, s23, v5
	s_delay_alu instid0(VALU_DEP_1) | instskip(SKIP_1) | instid1(VALU_DEP_1)
	v_cndmask_b32_e64 v4, v4, v6, s0
	s_mov_b32 s0, 0
                                        ; implicit-def: $vgpr5_vgpr6
	v_add_co_ci_u32_e32 v10, vcc_lo, 1, v4, vcc_lo
	s_delay_alu instid0(VALU_DEP_1)
	v_cmpx_lt_u32_e32 1, v10
	s_xor_b32 s29, exec_lo, s1
	s_cbranch_execz .LBB10_18
; %bb.15:
	s_abs_i32 s30, s9
	s_lshl_b32 s33, s7, 3
	v_cvt_f32_u32_e32 v4, s30
	s_sub_i32 s0, 0, s30
	s_add_i32 s35, s9, -1
	s_lshl_b32 s31, s23, 1
	s_mov_b32 s36, s7
	v_rcp_iflag_f32_e32 v4, v4
	s_mov_b32 s37, s7
	s_mov_b32 s38, s31
	;; [unrolled: 1-line block ×3, first 2 shown]
	s_ashr_i32 s34, s9, 31
	s_mov_b32 s40, 0
	s_lshl_b32 s41, s23, 2
	s_waitcnt_depctr 0xfff
	v_dual_mul_f32 v4, 0x4f7ffffe, v4 :: v_dual_and_b32 v11, -2, v10
	s_delay_alu instid0(VALU_DEP_1) | instskip(NEXT) | instid1(VALU_DEP_2)
	v_mov_b32_e32 v13, v11
	v_cvt_u32_f32_e32 v5, v4
	v_add_nc_u32_e32 v4, s23, v3
	v_lshlrev_b32_e32 v8, 1, v3
	s_delay_alu instid0(VALU_DEP_3) | instskip(NEXT) | instid1(VALU_DEP_2)
	v_mul_lo_u32 v6, s0, v5
	v_add3_u32 v12, 0, s33, v8
	s_delay_alu instid0(VALU_DEP_2) | instskip(NEXT) | instid1(VALU_DEP_1)
	v_mul_hi_u32 v7, v5, v6
	v_dual_mov_b32 v6, 0 :: v_dual_add_nc_u32 v5, v5, v7
	v_dual_mov_b32 v8, v4 :: v_dual_mov_b32 v7, v3
.LBB10_16:                              ; =>This Inner Loop Header: Depth=1
	s_delay_alu instid0(VALU_DEP_1) | instskip(NEXT) | instid1(VALU_DEP_2)
	v_mul_lo_u32 v4, v8, s37
	v_mul_lo_u32 v14, v7, s36
	v_add_nc_u32_e32 v8, s38, v8
	v_add_nc_u32_e32 v7, s31, v7
	v_add_nc_u32_e32 v13, -2, v13
	v_add3_u32 v15, s39, s37, v4
	v_add3_u32 v16, s35, s36, v14
	v_sub_nc_u32_e32 v18, 0, v14
	v_sub_nc_u32_e32 v20, 0, v4
	v_ashrrev_i32_e32 v17, 31, v14
	v_sub_nc_u32_e32 v24, 0, v15
	v_ashrrev_i32_e32 v19, 31, v4
	v_ashrrev_i32_e32 v21, 31, v16
	v_ashrrev_i32_e32 v23, 31, v15
	v_max_i32_e32 v14, v14, v18
	v_max_i32_e32 v4, v4, v20
	;; [unrolled: 1-line block ×3, first 2 shown]
	v_xor_b32_e32 v18, s34, v19
	v_xor_b32_e32 v20, s34, v21
	v_mul_hi_u32 v19, v14, v5
	v_mul_hi_u32 v21, v4, v5
	;; [unrolled: 1-line block ×3, first 2 shown]
	v_sub_nc_u32_e32 v22, 0, v16
	v_xor_b32_e32 v17, s34, v17
	v_mul_lo_u32 v25, v19, s30
	v_mul_lo_u32 v27, v21, s30
	v_mul_lo_u32 v30, v24, s30
	v_max_i32_e32 v16, v16, v22
	v_xor_b32_e32 v22, s34, v23
	v_add_nc_u32_e32 v32, 1, v24
	s_delay_alu instid0(VALU_DEP_3) | instskip(SKIP_3) | instid1(VALU_DEP_3)
	v_mul_hi_u32 v23, v16, v5
	v_sub_nc_u32_e32 v14, v14, v25
	v_sub_nc_u32_e32 v4, v4, v27
	v_sub_nc_u32_e32 v15, v15, v30
	v_cmp_le_u32_e32 vcc_lo, s30, v14
	v_add_nc_u32_e32 v28, 1, v21
	s_delay_alu instid0(VALU_DEP_4) | instskip(NEXT) | instid1(VALU_DEP_4)
	v_cmp_le_u32_e64 s0, s30, v4
	v_cmp_le_u32_e64 s2, s30, v15
	v_mul_lo_u32 v29, v23, s30
	v_subrev_nc_u32_e32 v25, s30, v14
	v_add_nc_u32_e32 v31, 1, v23
	v_cndmask_b32_e64 v21, v21, v28, s0
	v_cndmask_b32_e64 v24, v24, v32, s2
	v_subrev_nc_u32_e32 v28, s30, v15
	v_cndmask_b32_e32 v14, v14, v25, vcc_lo
	v_sub_nc_u32_e32 v16, v16, v29
	s_delay_alu instid0(VALU_DEP_3) | instskip(SKIP_2) | instid1(VALU_DEP_4)
	v_cndmask_b32_e64 v15, v15, v28, s2
	v_add_nc_u32_e32 v28, 1, v24
	v_add_nc_u32_e32 v26, 1, v19
	v_cmp_le_u32_e64 s1, s30, v16
	v_subrev_nc_u32_e32 v27, s30, v16
	s_delay_alu instid0(VALU_DEP_3) | instskip(SKIP_1) | instid1(VALU_DEP_4)
	v_cndmask_b32_e32 v19, v19, v26, vcc_lo
	v_subrev_nc_u32_e32 v26, s30, v4
	v_cndmask_b32_e64 v23, v23, v31, s1
	v_cmp_le_u32_e32 vcc_lo, s30, v14
	v_cndmask_b32_e64 v16, v16, v27, s1
	s_delay_alu instid0(VALU_DEP_4) | instskip(SKIP_2) | instid1(VALU_DEP_1)
	v_cndmask_b32_e64 v4, v4, v26, s0
	v_add_nc_u32_e32 v26, 1, v21
	v_add_nc_u32_e32 v25, 1, v19
	v_dual_cndmask_b32 v14, v19, v25 :: v_dual_add_nc_u32 v27, 1, v23
	s_delay_alu instid0(VALU_DEP_4) | instskip(NEXT) | instid1(VALU_DEP_2)
	v_cmp_le_u32_e32 vcc_lo, s30, v4
	v_xor_b32_e32 v14, v14, v17
	v_cndmask_b32_e32 v4, v21, v26, vcc_lo
	v_cmp_le_u32_e32 vcc_lo, s30, v16
	s_delay_alu instid0(VALU_DEP_3) | instskip(NEXT) | instid1(VALU_DEP_3)
	v_sub_nc_u32_e32 v14, v17, v14
	v_xor_b32_e32 v4, v4, v18
	v_cndmask_b32_e32 v16, v23, v27, vcc_lo
	v_cmp_le_u32_e32 vcc_lo, s30, v15
	s_delay_alu instid0(VALU_DEP_3) | instskip(NEXT) | instid1(VALU_DEP_3)
	v_sub_nc_u32_e32 v4, v18, v4
	v_xor_b32_e32 v16, v16, v20
	v_cndmask_b32_e32 v15, v24, v28, vcc_lo
	v_cmp_eq_u32_e32 vcc_lo, 0, v13
	s_delay_alu instid0(VALU_DEP_3) | instskip(NEXT) | instid1(VALU_DEP_3)
	v_sub_nc_u32_e32 v16, v16, v20
	v_xor_b32_e32 v15, v15, v22
	s_or_b32 s40, vcc_lo, s40
	s_delay_alu instid0(VALU_DEP_2) | instskip(NEXT) | instid1(VALU_DEP_2)
	v_add_nc_u32_e32 v14, v16, v14
	v_sub_nc_u32_e32 v15, v15, v22
	s_delay_alu instid0(VALU_DEP_2) | instskip(NEXT) | instid1(VALU_DEP_2)
	v_cvt_f32_i32_e32 v14, v14
	v_add_nc_u32_e32 v4, v15, v4
	v_add_nc_u32_e32 v15, s31, v12
	s_delay_alu instid0(VALU_DEP_3) | instskip(NEXT) | instid1(VALU_DEP_3)
	v_cvt_f16_f32_e32 v14, v14
	v_cvt_f32_i32_e32 v4, v4
	s_delay_alu instid0(VALU_DEP_2) | instskip(NEXT) | instid1(VALU_DEP_1)
	v_rcp_f16_e32 v14, v14
	v_cvt_f16_f32_e32 v4, v4
	s_delay_alu instid0(VALU_DEP_1)
	v_rcp_f16_e32 v4, v4
	ds_store_b16 v12, v14
	v_add_nc_u32_e32 v12, s41, v12
	ds_store_b16 v15, v4
	s_and_not1_b32 exec_lo, exec_lo, s40
	s_cbranch_execnz .LBB10_16
; %bb.17:
	s_or_b32 exec_lo, exec_lo, s40
	v_mad_u64_u32 v[7:8], null, v11, s23, v[3:4]
	v_cmp_ne_u32_e32 vcc_lo, v10, v11
	s_and_b32 s0, vcc_lo, exec_lo
.LBB10_18:
	s_or_saveexec_b32 s1, s29
	v_dual_mov_b32 v4, s34 :: v_dual_mov_b32 v13, s33
	v_mov_b32_e32 v8, s30
	v_mov_b32_e32 v10, s31
	s_xor_b32 exec_lo, exec_lo, s1
	s_cbranch_execz .LBB10_20
; %bb.19:
	s_abs_i32 s2, s9
	s_lshl_b32 s30, s7, 3
	v_cvt_f32_u32_e32 v4, s2
	s_sub_i32 s29, 0, s2
	s_lshl_b32 s31, s23, 1
	v_mov_b32_e32 v8, s2
	v_mov_b32_e32 v10, s31
	v_rcp_iflag_f32_e32 v4, v4
	s_or_b32 s0, s0, exec_lo
	s_waitcnt_depctr 0xfff
	v_dual_mov_b32 v13, s30 :: v_dual_mul_f32 v4, 0x4f7ffffe, v4
	s_delay_alu instid0(VALU_DEP_1) | instskip(NEXT) | instid1(VALU_DEP_1)
	v_cvt_u32_f32_e32 v5, v4
	v_mul_lo_u32 v4, s29, v5
	s_ashr_i32 s29, s9, 31
	s_delay_alu instid0(VALU_DEP_1) | instskip(SKIP_1) | instid1(VALU_DEP_2)
	v_mul_hi_u32 v7, v5, v4
	v_mov_b32_e32 v6, 0
	v_dual_mov_b32 v4, s29 :: v_dual_add_nc_u32 v5, v5, v7
	v_mov_b32_e32 v7, v3
.LBB10_20:
	s_or_b32 exec_lo, exec_lo, s1
	s_delay_alu instid0(SALU_CYCLE_1)
	s_and_b32 exec_lo, exec_lo, s0
	s_cbranch_execz .LBB10_23
; %bb.21:
	s_delay_alu instid0(VALU_DEP_1)
	v_mul_lo_u32 v11, v7, s7
	v_lshlrev_b32_e32 v14, 1, v7
	s_add_i32 s1, s9, s7
	s_mul_i32 s0, s7, s12
	s_mov_b32 s2, 0
	s_mul_i32 s0, s0, s3
	v_add3_u32 v13, v13, v14, 0
	s_mov_b32 s29, 0
	v_add3_u32 v12, s1, v11, -1
	s_mul_i32 s1, s0, s22
.LBB10_22:                              ; =>This Inner Loop Header: Depth=1
	s_delay_alu instid0(VALU_DEP_1) | instskip(SKIP_3) | instid1(VALU_DEP_3)
	v_add_nc_u32_e32 v14, s29, v12
	v_add_nc_u32_e32 v15, s29, v11
	;; [unrolled: 1-line block ×3, first 2 shown]
	s_add_i32 s29, s29, s1
	v_sub_nc_u32_e32 v16, 0, v14
	s_delay_alu instid0(VALU_DEP_3) | instskip(SKIP_2) | instid1(VALU_DEP_4)
	v_sub_nc_u32_e32 v18, 0, v15
	v_ashrrev_i32_e32 v17, 31, v14
	v_ashrrev_i32_e32 v19, 31, v15
	v_max_i32_e32 v20, v14, v16
	s_delay_alu instid0(VALU_DEP_4) | instskip(NEXT) | instid1(VALU_DEP_4)
	v_max_i32_e32 v21, v15, v18
	v_xor_b32_e32 v22, v17, v4
	s_delay_alu instid0(VALU_DEP_3) | instskip(NEXT) | instid1(VALU_DEP_3)
	v_mul_hi_u32 v14, v20, v5
	v_mul_hi_u32 v15, v21, v5
	s_delay_alu instid0(VALU_DEP_1) | instskip(SKIP_1) | instid1(VALU_DEP_2)
	v_mad_u64_u32 v[16:17], null, v20, v6, v[14:15]
	v_xor_b32_e32 v14, v19, v4
	v_mad_u64_u32 v[17:18], null, v21, v6, v[15:16]
	v_mul_lo_u32 v15, v16, v8
	v_add_nc_u32_e32 v19, 1, v16
	s_delay_alu instid0(VALU_DEP_3) | instskip(NEXT) | instid1(VALU_DEP_3)
	v_mul_lo_u32 v18, v17, v8
	v_sub_nc_u32_e32 v15, v20, v15
	s_delay_alu instid0(VALU_DEP_1) | instskip(SKIP_1) | instid1(VALU_DEP_4)
	v_cmp_ge_u32_e32 vcc_lo, v15, v8
	v_add_nc_u32_e32 v23, 1, v17
	v_sub_nc_u32_e32 v18, v21, v18
	v_cndmask_b32_e32 v16, v16, v19, vcc_lo
	v_sub_nc_u32_e32 v19, v15, v8
	s_delay_alu instid0(VALU_DEP_3) | instskip(SKIP_1) | instid1(VALU_DEP_3)
	v_sub_nc_u32_e32 v20, v18, v8
	v_cmp_ge_u32_e64 s0, v18, v8
	v_cndmask_b32_e32 v15, v15, v19, vcc_lo
	v_add_nc_u32_e32 v19, 1, v16
	s_delay_alu instid0(VALU_DEP_3) | instskip(SKIP_1) | instid1(VALU_DEP_4)
	v_cndmask_b32_e64 v17, v17, v23, s0
	v_cndmask_b32_e64 v18, v18, v20, s0
	v_cmp_ge_u32_e32 vcc_lo, v15, v8
	s_delay_alu instid0(VALU_DEP_3) | instskip(NEXT) | instid1(VALU_DEP_3)
	v_dual_cndmask_b32 v15, v16, v19 :: v_dual_add_nc_u32 v20, 1, v17
	v_cmp_ge_u32_e32 vcc_lo, v18, v8
	s_delay_alu instid0(VALU_DEP_2) | instskip(NEXT) | instid1(VALU_DEP_3)
	v_xor_b32_e32 v15, v15, v22
	v_cndmask_b32_e32 v16, v17, v20, vcc_lo
	v_cmp_le_i32_e32 vcc_lo, s9, v7
	s_delay_alu instid0(VALU_DEP_3) | instskip(NEXT) | instid1(VALU_DEP_3)
	v_sub_nc_u32_e32 v15, v15, v22
	v_xor_b32_e32 v16, v16, v14
	s_or_b32 s2, vcc_lo, s2
	s_delay_alu instid0(VALU_DEP_1) | instskip(NEXT) | instid1(VALU_DEP_1)
	v_sub_nc_u32_e32 v14, v14, v16
	v_add_nc_u32_e32 v14, v15, v14
	s_delay_alu instid0(VALU_DEP_1) | instskip(NEXT) | instid1(VALU_DEP_1)
	v_cvt_f32_i32_e32 v14, v14
	v_cvt_f16_f32_e32 v14, v14
	s_delay_alu instid0(VALU_DEP_1)
	v_rcp_f16_e32 v14, v14
	ds_store_b16 v13, v14
	v_add_nc_u32_e32 v13, v13, v10
	s_and_not1_b32 exec_lo, exec_lo, s2
	s_cbranch_execnz .LBB10_22
.LBB10_23:
	s_or_b32 exec_lo, exec_lo, s28
	v_cvt_f32_u32_e32 v4, s4
	s_sub_i32 s1, 0, s4
	s_mov_b32 s28, exec_lo
	s_delay_alu instid0(VALU_DEP_1) | instskip(SKIP_2) | instid1(VALU_DEP_1)
	v_rcp_iflag_f32_e32 v4, v4
	s_waitcnt_depctr 0xfff
	v_mul_f32_e32 v4, 0x4f7ffffe, v4
	v_cvt_u32_f32_e32 v4, v4
	s_delay_alu instid0(VALU_DEP_1) | instskip(NEXT) | instid1(VALU_DEP_1)
	v_readfirstlane_b32 s0, v4
	s_mul_i32 s2, s1, s0
	s_mul_i32 s1, s23, s11
	s_mul_hi_u32 s2, s0, s2
	s_delay_alu instid0(SALU_CYCLE_1)
	s_add_i32 s0, s0, s2
	s_mov_b32 s2, 0
	s_mul_hi_u32 s0, s13, s0
	v_cmpx_gt_u32_e64 s1, v3
	s_cbranch_execz .LBB10_26
; %bb.24:
	s_lshl_b32 s29, s7, 3
	s_lshl_b32 s30, s9, 1
	v_dual_mov_b32 v5, 0 :: v_dual_lshlrev_b32 v4, 1, v3
	s_add_i32 s29, s29, s30
	s_lshl_b32 s30, s8, 1
	s_delay_alu instid0(SALU_CYCLE_1)
	s_add_i32 s29, s29, s30
	s_delay_alu instid0(VALU_DEP_1) | instid1(SALU_CYCLE_1)
	v_add3_u32 v4, 0, s29, v4
	s_lshl_b32 s29, s23, 1
.LBB10_25:                              ; =>This Inner Loop Header: Depth=1
	v_add_nc_u32_e32 v3, s23, v3
	ds_store_b16 v4, v5
	v_add_nc_u32_e32 v4, s29, v4
	v_cmp_le_u32_e32 vcc_lo, s1, v3
	s_or_b32 s2, vcc_lo, s2
	s_delay_alu instid0(SALU_CYCLE_1)
	s_and_not1_b32 exec_lo, exec_lo, s2
	s_cbranch_execnz .LBB10_25
.LBB10_26:
	s_or_b32 exec_lo, exec_lo, s28
	v_cvt_f32_u32_e32 v3, s21
	s_sub_i32 s2, 0, s21
	s_add_i32 s23, s6, -1
	s_waitcnt lgkmcnt(0)
	s_add_i32 s28, s23, s21
	v_rcp_iflag_f32_e32 v3, v3
	s_barrier
	buffer_gl0_inv
	v_mul_f32_e32 v3, 0x4f7ffffe, v3
	s_delay_alu instid0(VALU_DEP_1) | instskip(NEXT) | instid1(VALU_DEP_1)
	v_cvt_u32_f32_e32 v3, v3
	v_readfirstlane_b32 s1, v3
	v_cvt_f32_u32_e32 v3, s20
	s_delay_alu instid0(VALU_DEP_2) | instskip(NEXT) | instid1(VALU_DEP_1)
	s_mul_i32 s2, s2, s1
	v_rcp_iflag_f32_e32 v5, v3
	s_mul_hi_u32 s2, s1, s2
	s_delay_alu instid0(SALU_CYCLE_1) | instskip(NEXT) | instid1(SALU_CYCLE_1)
	s_add_i32 s1, s1, s2
	s_mul_hi_u32 s1, s28, s1
	s_delay_alu instid0(SALU_CYCLE_1) | instskip(NEXT) | instid1(SALU_CYCLE_1)
	s_mul_i32 s2, s1, s21
	s_sub_i32 s2, s28, s2
	s_add_i32 s28, s1, 1
	s_sub_i32 s29, s2, s21
	s_cmp_ge_u32 s2, s21
	s_cselect_b32 s1, s28, s1
	s_cselect_b32 s2, s29, s2
	s_add_i32 s28, s1, 1
	s_cmp_ge_u32 s2, s21
	s_mov_b32 s2, exec_lo
	s_cselect_b32 s1, s28, s1
	s_delay_alu instid0(SALU_CYCLE_1) | instskip(SKIP_3) | instid1(VALU_DEP_1)
	v_mad_u64_u32 v[3:4], null, s1, s15, v[2:3]
	s_waitcnt_depctr 0xfff
	v_mul_f32_e32 v2, 0x4f7ffffe, v5
	s_mov_b32 s15, 0
	v_cvt_u32_f32_e32 v5, v2
	v_add_nc_u32_e32 v4, s1, v3
	s_delay_alu instid0(VALU_DEP_2) | instskip(NEXT) | instid1(VALU_DEP_2)
	v_readfirstlane_b32 s1, v5
	v_min_i32_e32 v2, s6, v4
	s_delay_alu instid0(VALU_DEP_1)
	v_cmpx_lt_i32_e64 v3, v2
	s_cbranch_execz .LBB10_44
; %bb.27:
	s_sub_i32 s2, 0, s20
	s_mul_i32 s28, s0, s4
	s_mul_i32 s2, s2, s1
	s_add_i32 s21, s7, s20
	s_mul_hi_u32 s2, s1, s2
	s_add_i32 s30, s21, -1
	s_add_i32 s2, s1, s2
	s_sub_i32 s1, s13, s28
	s_add_i32 s21, s0, 1
	s_sub_i32 s28, s1, s4
	s_cmp_ge_u32 s1, s4
	s_mul_hi_u32 s2, s30, s2
	s_cselect_b32 s0, s21, s0
	s_cselect_b32 s1, s28, s1
	s_add_i32 s21, s0, 1
	s_cmp_ge_u32 s1, s4
	v_mul_lo_u32 v5, s11, v9
	s_cselect_b32 s31, s21, s0
	s_mul_i32 s0, s6, s5
	s_mul_i32 s1, s31, s4
	;; [unrolled: 1-line block ×3, first 2 shown]
	s_sub_i32 s4, s13, s1
	s_mul_i32 s11, s3, s10
	s_mul_i32 s0, s0, s4
	;; [unrolled: 1-line block ×3, first 2 shown]
	s_ashr_i32 s1, s0, 31
	v_mul_lo_u32 v6, v5, s3
	s_lshl_b64 s[0:1], s[0:1], 1
	v_mov_b32_e32 v10, 0
	s_add_u32 s4, s24, s0
	s_addc_u32 s13, s25, s1
	s_ashr_i32 s29, s28, 31
	s_mul_i32 s24, s2, s20
	s_lshl_b64 s[0:1], s[28:29], 1
	v_lshlrev_b32_e32 v8, 1, v6
	s_add_u32 s16, s26, s0
	s_addc_u32 s21, s27, s1
	s_sub_i32 s0, s30, s24
	s_add_i32 s1, s2, 1
	s_sub_i32 s24, s0, s20
	s_cmp_ge_u32 s0, s20
	s_cselect_b32 s1, s1, s2
	s_cselect_b32 s0, s24, s0
	s_add_i32 s2, s1, 1
	s_cmp_ge_u32 s0, s20
	s_cselect_b32 s0, s2, s1
	s_abs_i32 s20, s6
	s_mul_i32 s1, s17, s10
	v_cvt_f32_u32_e32 v4, s20
	s_sub_i32 s2, 0, s20
	s_lshl_b32 s10, s7, 3
	s_ashr_i32 s6, s6, 31
	s_lshl_b32 s24, s3, 1
	v_rcp_iflag_f32_e32 v4, v4
	s_waitcnt_depctr 0xfff
	v_mul_f32_e32 v7, 0x4f7ffffe, v4
	v_mad_u64_u32 v[4:5], null, s31, s3, v[0:1]
	v_mad_u64_u32 v[5:6], null, s0, s14, v[1:2]
	s_delay_alu instid0(VALU_DEP_3) | instskip(SKIP_1) | instid1(VALU_DEP_4)
	v_cvt_u32_f32_e32 v9, v7
	v_lshlrev_b32_e32 v0, 1, v0
	v_mul_lo_u32 v6, s17, v4
	s_delay_alu instid0(VALU_DEP_3) | instskip(SKIP_1) | instid1(VALU_DEP_4)
	v_mul_lo_u32 v1, s2, v9
	v_add_nc_u32_e32 v7, s0, v5
	v_add3_u32 v0, v8, s10, v0
	s_lshl_b32 s0, s8, 1
	s_lshl_b32 s2, s7, 2
	;; [unrolled: 1-line block ×3, first 2 shown]
	v_min_i32_e32 v7, s7, v7
	s_add_i32 s0, s0, 0
	v_mul_hi_u32 v1, v9, v1
	s_add_i32 s9, s2, 0
	v_cmp_gt_i32_e32 vcc_lo, s5, v4
	v_add3_u32 v8, s0, s17, v0
	v_cmp_lt_i32_e64 s0, v5, v7
	s_add_i32 s10, s9, s2
	s_delay_alu instid0(SALU_CYCLE_1) | instskip(NEXT) | instid1(VALU_DEP_4)
	s_add_i32 s14, s10, s17
	v_add_nc_u32_e32 v9, v9, v1
	s_mul_i32 s17, s1, s3
	s_branch .LBB10_29
.LBB10_28:                              ;   in Loop: Header=BB10_29 Depth=1
	s_or_b32 exec_lo, exec_lo, s25
	v_add_nc_u32_e32 v3, s22, v3
	s_delay_alu instid0(VALU_DEP_1) | instskip(NEXT) | instid1(VALU_DEP_1)
	v_cmp_ge_i32_e64 s1, v3, v2
	s_or_b32 s15, s1, s15
	s_delay_alu instid0(SALU_CYCLE_1)
	s_and_not1_b32 exec_lo, exec_lo, s15
	s_cbranch_execz .LBB10_44
.LBB10_29:                              ; =>This Loop Header: Depth=1
                                        ;     Child Loop BB10_32 Depth 2
                                        ;       Child Loop BB10_35 Depth 3
                                        ;         Child Loop BB10_38 Depth 4
                                        ;           Child Loop BB10_40 Depth 5
                                        ;       Child Loop BB10_43 Depth 3
	s_and_saveexec_b32 s25, s0
	s_cbranch_execz .LBB10_28
; %bb.30:                               ;   in Loop: Header=BB10_29 Depth=1
	v_mul_lo_u32 v0, v3, s8
	s_mov_b32 s26, 0
	s_delay_alu instid0(VALU_DEP_1) | instskip(SKIP_1) | instid1(VALU_DEP_2)
	v_sub_nc_u32_e32 v11, 0, v0
	v_add3_u32 v1, s23, s8, v0
	v_max_i32_e32 v11, v0, v11
	s_delay_alu instid0(VALU_DEP_2) | instskip(SKIP_1) | instid1(VALU_DEP_3)
	v_sub_nc_u32_e32 v12, 0, v1
	v_ashrrev_i32_e32 v0, 31, v0
	v_mul_hi_u32 v13, v11, v9
	s_delay_alu instid0(VALU_DEP_3) | instskip(SKIP_1) | instid1(VALU_DEP_4)
	v_max_i32_e32 v12, v1, v12
	v_ashrrev_i32_e32 v1, 31, v1
	v_xor_b32_e32 v0, s6, v0
	s_delay_alu instid0(VALU_DEP_3) | instskip(NEXT) | instid1(VALU_DEP_3)
	v_mul_hi_u32 v14, v12, v9
	v_xor_b32_e32 v1, s6, v1
	v_mul_lo_u32 v15, v13, s20
	s_delay_alu instid0(VALU_DEP_3) | instskip(NEXT) | instid1(VALU_DEP_2)
	v_mul_lo_u32 v16, v14, s20
	v_sub_nc_u32_e32 v11, v11, v15
	v_add_nc_u32_e32 v15, 1, v13
	s_delay_alu instid0(VALU_DEP_2) | instskip(NEXT) | instid1(VALU_DEP_4)
	v_cmp_le_u32_e64 s1, s20, v11
	v_sub_nc_u32_e32 v12, v12, v16
	v_add_nc_u32_e32 v16, 1, v14
	s_delay_alu instid0(VALU_DEP_3) | instskip(SKIP_1) | instid1(VALU_DEP_4)
	v_cndmask_b32_e64 v13, v13, v15, s1
	v_subrev_nc_u32_e32 v15, s20, v11
	v_subrev_nc_u32_e32 v17, s20, v12
	v_cmp_le_u32_e64 s2, s20, v12
	s_delay_alu instid0(VALU_DEP_3) | instskip(SKIP_1) | instid1(VALU_DEP_3)
	v_cndmask_b32_e64 v11, v11, v15, s1
	v_add_nc_u32_e32 v15, 1, v13
	v_cndmask_b32_e64 v14, v14, v16, s2
	v_cndmask_b32_e64 v12, v12, v17, s2
	s_delay_alu instid0(VALU_DEP_4) | instskip(NEXT) | instid1(VALU_DEP_3)
	v_cmp_le_u32_e64 s1, s20, v11
	v_add_nc_u32_e32 v16, 1, v14
	s_delay_alu instid0(VALU_DEP_2) | instskip(NEXT) | instid1(VALU_DEP_4)
	v_cndmask_b32_e64 v11, v13, v15, s1
	v_cmp_le_u32_e64 s1, s20, v12
	v_mul_lo_u32 v13, v3, s7
	s_delay_alu instid0(VALU_DEP_3) | instskip(NEXT) | instid1(VALU_DEP_3)
	v_xor_b32_e32 v11, v11, v0
	v_cndmask_b32_e64 v12, v14, v16, s1
	v_mov_b32_e32 v14, v5
	s_delay_alu instid0(VALU_DEP_3) | instskip(NEXT) | instid1(VALU_DEP_3)
	v_sub_nc_u32_e32 v11, v11, v0
	v_xor_b32_e32 v12, v12, v1
	s_delay_alu instid0(VALU_DEP_1) | instskip(NEXT) | instid1(VALU_DEP_1)
	v_sub_nc_u32_e32 v12, v12, v1
	v_cmp_lt_i32_e64 s1, v11, v12
	s_branch .LBB10_32
.LBB10_31:                              ;   in Loop: Header=BB10_32 Depth=2
	s_or_b32 exec_lo, exec_lo, s27
	v_add_nc_u32_e32 v14, s12, v14
	s_delay_alu instid0(VALU_DEP_1) | instskip(NEXT) | instid1(VALU_DEP_1)
	v_cmp_ge_i32_e64 s2, v14, v7
	s_or_b32 s26, s2, s26
	s_delay_alu instid0(SALU_CYCLE_1)
	s_and_not1_b32 exec_lo, exec_lo, s26
	s_cbranch_execz .LBB10_28
.LBB10_32:                              ;   Parent Loop BB10_29 Depth=1
                                        ; =>  This Loop Header: Depth=2
                                        ;       Child Loop BB10_35 Depth 3
                                        ;         Child Loop BB10_38 Depth 4
                                        ;           Child Loop BB10_40 Depth 5
                                        ;       Child Loop BB10_43 Depth 3
	s_delay_alu instid0(VALU_DEP_1)
	s_and_saveexec_b32 s27, s1
	s_cbranch_execz .LBB10_41
; %bb.33:                               ;   in Loop: Header=BB10_32 Depth=2
	v_dual_mov_b32 v17, v11 :: v_dual_lshlrev_b32 v0, 2, v14
	s_mov_b32 s28, 0
	s_delay_alu instid0(VALU_DEP_1)
	v_add_nc_u32_e32 v1, 0, v0
	v_add_nc_u32_e32 v0, s9, v0
	ds_load_b32 v15, v1
	ds_load_b32 v16, v0
	s_waitcnt lgkmcnt(0)
	v_cmp_lt_i32_e64 s2, v15, v16
	s_branch .LBB10_35
.LBB10_34:                              ;   in Loop: Header=BB10_35 Depth=3
	s_or_b32 exec_lo, exec_lo, s29
	v_add_nc_u32_e32 v17, 1, v17
	s_delay_alu instid0(VALU_DEP_1) | instskip(NEXT) | instid1(VALU_DEP_1)
	v_cmp_ge_i32_e64 s3, v17, v12
	s_or_b32 s28, s3, s28
	s_delay_alu instid0(SALU_CYCLE_1)
	s_and_not1_b32 exec_lo, exec_lo, s28
	s_cbranch_execz .LBB10_41
.LBB10_35:                              ;   Parent Loop BB10_29 Depth=1
                                        ;     Parent Loop BB10_32 Depth=2
                                        ; =>    This Loop Header: Depth=3
                                        ;         Child Loop BB10_38 Depth 4
                                        ;           Child Loop BB10_40 Depth 5
	s_delay_alu instid0(VALU_DEP_1)
	s_and_saveexec_b32 s29, s2
	s_cbranch_execz .LBB10_34
; %bb.36:                               ;   in Loop: Header=BB10_35 Depth=3
	v_mul_lo_u32 v0, v17, s18
	v_lshl_add_u32 v18, v17, 1, s14
	v_mov_b32_e32 v21, v15
	s_mov_b32 s30, 0
	s_delay_alu instid0(VALU_DEP_3) | instskip(NEXT) | instid1(VALU_DEP_1)
	v_ashrrev_i32_e32 v1, 31, v0
	v_lshlrev_b64 v[0:1], 1, v[0:1]
	s_delay_alu instid0(VALU_DEP_1) | instskip(NEXT) | instid1(VALU_DEP_1)
	v_add_co_u32 v19, s3, s16, v0
	v_add_co_ci_u32_e64 v20, s3, s21, v1, s3
	s_branch .LBB10_38
.LBB10_37:                              ;   in Loop: Header=BB10_38 Depth=4
	s_or_b32 exec_lo, exec_lo, s31
	v_add_nc_u32_e32 v21, 1, v21
	s_delay_alu instid0(VALU_DEP_1) | instskip(NEXT) | instid1(VALU_DEP_1)
	v_cmp_ge_i32_e64 s3, v21, v16
	s_or_b32 s30, s3, s30
	s_delay_alu instid0(SALU_CYCLE_1)
	s_and_not1_b32 exec_lo, exec_lo, s30
	s_cbranch_execz .LBB10_34
.LBB10_38:                              ;   Parent Loop BB10_29 Depth=1
                                        ;     Parent Loop BB10_32 Depth=2
                                        ;       Parent Loop BB10_35 Depth=3
                                        ; =>      This Loop Header: Depth=4
                                        ;           Child Loop BB10_40 Depth 5
	s_and_saveexec_b32 s31, vcc_lo
	s_cbranch_execz .LBB10_37
; %bb.39:                               ;   in Loop: Header=BB10_38 Depth=4
	v_lshl_add_u32 v1, v21, 1, s10
	v_mul_lo_u32 v0, v21, s19
	v_mov_b32_e32 v22, v8
	s_mov_b32 s33, 0
	ds_load_u16 v25, v1
	ds_load_u16 v26, v18
	v_ashrrev_i32_e32 v1, 31, v0
	s_delay_alu instid0(VALU_DEP_1) | instskip(SKIP_1) | instid1(VALU_DEP_2)
	v_lshlrev_b64 v[23:24], 1, v[0:1]
	v_mov_b32_e32 v0, v6
	v_add_co_u32 v23, s3, v19, v23
	s_delay_alu instid0(VALU_DEP_1)
	v_add_co_ci_u32_e64 v24, s3, v20, v24, s3
	s_waitcnt lgkmcnt(0)
	v_mul_f16_e32 v25, v25, v26
	v_mov_b32_e32 v26, v4
	.p2align	6
.LBB10_40:                              ;   Parent Loop BB10_29 Depth=1
                                        ;     Parent Loop BB10_32 Depth=2
                                        ;       Parent Loop BB10_35 Depth=3
                                        ;         Parent Loop BB10_38 Depth=4
                                        ; =>        This Inner Loop Header: Depth=5
	v_ashrrev_i32_e32 v1, 31, v0
	s_delay_alu instid0(VALU_DEP_2) | instskip(NEXT) | instid1(VALU_DEP_2)
	v_add_nc_u32_e32 v26, s11, v26
	v_lshlrev_b64 v[27:28], 1, v[0:1]
	v_add_nc_u32_e32 v0, s17, v0
	s_delay_alu instid0(VALU_DEP_2) | instskip(NEXT) | instid1(VALU_DEP_1)
	v_add_co_u32 v27, s3, v23, v27
	v_add_co_ci_u32_e64 v28, s3, v24, v28, s3
	v_cmp_le_i32_e64 s3, s5, v26
	global_load_u16 v1, v[27:28], off
	ds_load_u16 v27, v22
	s_or_b32 s33, s3, s33
	s_waitcnt vmcnt(0) lgkmcnt(0)
	v_fmac_f16_e32 v27, v25, v1
	ds_store_b16 v22, v27
	v_add_nc_u32_e32 v22, s24, v22
	s_and_not1_b32 exec_lo, exec_lo, s33
	s_cbranch_execnz .LBB10_40
	s_branch .LBB10_37
.LBB10_41:                              ;   in Loop: Header=BB10_32 Depth=2
	s_or_b32 exec_lo, exec_lo, s27
	s_and_saveexec_b32 s27, vcc_lo
	s_cbranch_execz .LBB10_31
; %bb.42:                               ;   in Loop: Header=BB10_32 Depth=2
	v_dual_mov_b32 v15, v8 :: v_dual_add_nc_u32 v0, v14, v13
	s_mov_b32 s28, 0
	s_delay_alu instid0(VALU_DEP_1) | instskip(NEXT) | instid1(VALU_DEP_1)
	v_mul_lo_u32 v0, v0, s5
	v_ashrrev_i32_e32 v1, 31, v0
	s_delay_alu instid0(VALU_DEP_1) | instskip(NEXT) | instid1(VALU_DEP_1)
	v_lshlrev_b64 v[0:1], 1, v[0:1]
	v_add_co_u32 v16, s2, s4, v0
	s_delay_alu instid0(VALU_DEP_1)
	v_add_co_ci_u32_e64 v17, s2, s13, v1, s2
	v_mov_b32_e32 v0, v4
	.p2align	6
.LBB10_43:                              ;   Parent Loop BB10_29 Depth=1
                                        ;     Parent Loop BB10_32 Depth=2
                                        ; =>    This Inner Loop Header: Depth=3
	ds_load_u16 v20, v15
	v_ashrrev_i32_e32 v1, 31, v0
	ds_store_b16 v15, v10
	v_add_nc_u32_e32 v15, s24, v15
	v_lshlrev_b64 v[18:19], 1, v[0:1]
	v_add_nc_u32_e32 v0, s11, v0
	s_delay_alu instid0(VALU_DEP_1) | instskip(NEXT) | instid1(VALU_DEP_3)
	v_cmp_le_i32_e64 s2, s5, v0
	v_add_co_u32 v18, s3, v16, v18
	s_delay_alu instid0(VALU_DEP_1) | instskip(NEXT) | instid1(VALU_DEP_3)
	v_add_co_ci_u32_e64 v19, s3, v17, v19, s3
	s_or_b32 s28, s2, s28
	s_waitcnt lgkmcnt(1)
	global_store_b16 v[18:19], v20, off
	s_and_not1_b32 exec_lo, exec_lo, s28
	s_cbranch_execnz .LBB10_43
	s_branch .LBB10_31
.LBB10_44:
	s_nop 0
	s_sendmsg sendmsg(MSG_DEALLOC_VGPRS)
	s_endpgm
	.section	.rodata,"a",@progbits
	.p2align	6, 0x0
	.amdhsa_kernel _ZN2at6native12_GLOBAL__N_131adaptive_average_gradinput_nhwcIiN3c104HalfEEEvPT0_PKS5_iiiiiiiiT_S9_S9_S9_
		.amdhsa_group_segment_fixed_size 0
		.amdhsa_private_segment_fixed_size 0
		.amdhsa_kernarg_size 320
		.amdhsa_user_sgpr_count 13
		.amdhsa_user_sgpr_dispatch_ptr 0
		.amdhsa_user_sgpr_queue_ptr 0
		.amdhsa_user_sgpr_kernarg_segment_ptr 1
		.amdhsa_user_sgpr_dispatch_id 0
		.amdhsa_user_sgpr_private_segment_size 0
		.amdhsa_wavefront_size32 1
		.amdhsa_uses_dynamic_stack 0
		.amdhsa_enable_private_segment 0
		.amdhsa_system_sgpr_workgroup_id_x 1
		.amdhsa_system_sgpr_workgroup_id_y 1
		.amdhsa_system_sgpr_workgroup_id_z 1
		.amdhsa_system_sgpr_workgroup_info 0
		.amdhsa_system_vgpr_workitem_id 2
		.amdhsa_next_free_vgpr 35
		.amdhsa_next_free_sgpr 43
		.amdhsa_reserve_vcc 1
		.amdhsa_float_round_mode_32 0
		.amdhsa_float_round_mode_16_64 0
		.amdhsa_float_denorm_mode_32 3
		.amdhsa_float_denorm_mode_16_64 3
		.amdhsa_dx10_clamp 1
		.amdhsa_ieee_mode 1
		.amdhsa_fp16_overflow 0
		.amdhsa_workgroup_processor_mode 1
		.amdhsa_memory_ordered 1
		.amdhsa_forward_progress 0
		.amdhsa_shared_vgpr_count 0
		.amdhsa_exception_fp_ieee_invalid_op 0
		.amdhsa_exception_fp_denorm_src 0
		.amdhsa_exception_fp_ieee_div_zero 0
		.amdhsa_exception_fp_ieee_overflow 0
		.amdhsa_exception_fp_ieee_underflow 0
		.amdhsa_exception_fp_ieee_inexact 0
		.amdhsa_exception_int_div_zero 0
	.end_amdhsa_kernel
	.section	.text._ZN2at6native12_GLOBAL__N_131adaptive_average_gradinput_nhwcIiN3c104HalfEEEvPT0_PKS5_iiiiiiiiT_S9_S9_S9_,"axG",@progbits,_ZN2at6native12_GLOBAL__N_131adaptive_average_gradinput_nhwcIiN3c104HalfEEEvPT0_PKS5_iiiiiiiiT_S9_S9_S9_,comdat
.Lfunc_end10:
	.size	_ZN2at6native12_GLOBAL__N_131adaptive_average_gradinput_nhwcIiN3c104HalfEEEvPT0_PKS5_iiiiiiiiT_S9_S9_S9_, .Lfunc_end10-_ZN2at6native12_GLOBAL__N_131adaptive_average_gradinput_nhwcIiN3c104HalfEEEvPT0_PKS5_iiiiiiiiT_S9_S9_S9_
                                        ; -- End function
	.section	.AMDGPU.csdata,"",@progbits
; Kernel info:
; codeLenInByte = 5108
; NumSgprs: 45
; NumVgprs: 35
; ScratchSize: 0
; MemoryBound: 0
; FloatMode: 240
; IeeeMode: 1
; LDSByteSize: 0 bytes/workgroup (compile time only)
; SGPRBlocks: 5
; VGPRBlocks: 4
; NumSGPRsForWavesPerEU: 45
; NumVGPRsForWavesPerEU: 35
; Occupancy: 16
; WaveLimiterHint : 0
; COMPUTE_PGM_RSRC2:SCRATCH_EN: 0
; COMPUTE_PGM_RSRC2:USER_SGPR: 13
; COMPUTE_PGM_RSRC2:TRAP_HANDLER: 0
; COMPUTE_PGM_RSRC2:TGID_X_EN: 1
; COMPUTE_PGM_RSRC2:TGID_Y_EN: 1
; COMPUTE_PGM_RSRC2:TGID_Z_EN: 1
; COMPUTE_PGM_RSRC2:TIDIG_COMP_CNT: 2
	.section	.text._ZN2at6native12_GLOBAL__N_131adaptive_average_gradinput_nhwcIiN3c108BFloat16EEEvPT0_PKS5_iiiiiiiiT_S9_S9_S9_,"axG",@progbits,_ZN2at6native12_GLOBAL__N_131adaptive_average_gradinput_nhwcIiN3c108BFloat16EEEvPT0_PKS5_iiiiiiiiT_S9_S9_S9_,comdat
	.globl	_ZN2at6native12_GLOBAL__N_131adaptive_average_gradinput_nhwcIiN3c108BFloat16EEEvPT0_PKS5_iiiiiiiiT_S9_S9_S9_ ; -- Begin function _ZN2at6native12_GLOBAL__N_131adaptive_average_gradinput_nhwcIiN3c108BFloat16EEEvPT0_PKS5_iiiiiiiiT_S9_S9_S9_
	.p2align	8
	.type	_ZN2at6native12_GLOBAL__N_131adaptive_average_gradinput_nhwcIiN3c108BFloat16EEEvPT0_PKS5_iiiiiiiiT_S9_S9_S9_,@function
_ZN2at6native12_GLOBAL__N_131adaptive_average_gradinput_nhwcIiN3c108BFloat16EEEvPT0_PKS5_iiiiiiiiT_S9_S9_S9_: ; @_ZN2at6native12_GLOBAL__N_131adaptive_average_gradinput_nhwcIiN3c108BFloat16EEEvPT0_PKS5_iiiiiiiiT_S9_S9_S9_
; %bb.0:
	s_clause 0x3
	s_load_b128 s[20:23], s[0:1], 0x44
	s_load_b256 s[4:11], s[0:1], 0x10
	s_load_b128 s[16:19], s[0:1], 0x30
	s_load_b128 s[24:27], s[0:1], 0x0
	v_bfe_u32 v1, v0, 10, 10
	v_bfe_u32 v2, v0, 20, 10
	v_and_b32_e32 v0, 0x3ff, v0
	s_mov_b32 s1, exec_lo
	s_waitcnt lgkmcnt(0)
	s_lshr_b32 s12, s22, 16
	s_and_b32 s3, s22, 0xffff
	v_mad_u32_u24 v9, v2, s12, v1
	s_and_b32 s22, s23, 0xffff
	s_mul_i32 s23, s12, s3
	s_delay_alu instid0(SALU_CYCLE_1) | instskip(NEXT) | instid1(VALU_DEP_1)
	s_mul_i32 s23, s23, s22
	v_mad_u64_u32 v[3:4], null, v9, s3, v[0:1]
	s_delay_alu instid0(VALU_DEP_1)
	v_cmpx_gt_i32_e64 s7, v3
	s_cbranch_execz .LBB11_3
; %bb.1:
	s_abs_i32 s2, s7
	s_add_i32 s31, s7, s9
	v_cvt_f32_u32_e32 v4, s2
	s_sub_i32 s0, 0, s2
	s_ashr_i32 s28, s7, 31
	s_mov_b32 s29, 0
	s_lshl_b32 s33, s7, 2
	v_rcp_iflag_f32_e32 v4, v4
	s_mov_b32 s34, 0
	s_waitcnt_depctr 0xfff
	v_mul_f32_e32 v4, 0x4f7ffffe, v4
	s_delay_alu instid0(VALU_DEP_1) | instskip(SKIP_1) | instid1(VALU_DEP_2)
	v_cvt_u32_f32_e32 v7, v4
	v_mul_lo_u32 v4, s9, v3
	v_mul_lo_u32 v5, s0, v7
	s_mul_i32 s0, s9, s12
	s_delay_alu instid0(SALU_CYCLE_1) | instskip(NEXT) | instid1(VALU_DEP_2)
	s_mul_i32 s30, s0, s3
	v_add3_u32 v6, s31, v4, -1
	s_mul_i32 s30, s30, s22
	s_lshl_b32 s31, s23, 2
	s_delay_alu instid0(VALU_DEP_2) | instskip(SKIP_1) | instid1(VALU_DEP_2)
	v_mul_hi_u32 v8, v7, v5
	v_lshl_add_u32 v5, v3, 2, 0
	v_add_nc_u32_e32 v7, v7, v8
	v_mov_b32_e32 v8, v3
.LBB11_2:                               ; =>This Inner Loop Header: Depth=1
	v_add_nc_u32_e32 v10, s34, v4
	s_delay_alu instid0(VALU_DEP_2) | instskip(NEXT) | instid1(VALU_DEP_2)
	v_add_nc_u32_e32 v8, s23, v8
	v_sub_nc_u32_e32 v12, 0, v10
	v_ashrrev_i32_e32 v13, 31, v10
	s_delay_alu instid0(VALU_DEP_2) | instskip(NEXT) | instid1(VALU_DEP_2)
	v_max_i32_e32 v10, v10, v12
	v_xor_b32_e32 v12, s28, v13
	s_delay_alu instid0(VALU_DEP_2) | instskip(NEXT) | instid1(VALU_DEP_1)
	v_mul_hi_u32 v13, v10, v7
	v_mul_lo_u32 v16, v13, s2
	v_add_nc_u32_e32 v18, 1, v13
	s_delay_alu instid0(VALU_DEP_2) | instskip(NEXT) | instid1(VALU_DEP_1)
	v_sub_nc_u32_e32 v10, v10, v16
	v_subrev_nc_u32_e32 v16, s2, v10
	v_cmp_le_u32_e32 vcc_lo, s2, v10
	v_add_nc_u32_e32 v11, s34, v6
	s_add_i32 s34, s34, s30
	s_delay_alu instid0(VALU_DEP_3) | instskip(NEXT) | instid1(VALU_DEP_2)
	v_cndmask_b32_e32 v10, v10, v16, vcc_lo
	v_sub_nc_u32_e32 v14, 0, v11
	v_ashrrev_i32_e32 v15, 31, v11
	v_cndmask_b32_e32 v13, v13, v18, vcc_lo
	s_delay_alu instid0(VALU_DEP_4) | instskip(NEXT) | instid1(VALU_DEP_4)
	v_cmp_le_u32_e32 vcc_lo, s2, v10
	v_max_i32_e32 v11, v11, v14
	s_delay_alu instid0(VALU_DEP_3) | instskip(NEXT) | instid1(VALU_DEP_2)
	v_add_nc_u32_e32 v16, 1, v13
	v_mul_hi_u32 v14, v11, v7
	s_delay_alu instid0(VALU_DEP_2) | instskip(SKIP_1) | instid1(VALU_DEP_2)
	v_cndmask_b32_e32 v10, v13, v16, vcc_lo
	v_xor_b32_e32 v13, s28, v15
	v_xor_b32_e32 v10, v10, v12
	s_delay_alu instid0(VALU_DEP_4) | instskip(SKIP_1) | instid1(VALU_DEP_3)
	v_mul_lo_u32 v17, v14, s2
	v_add_nc_u32_e32 v19, 1, v14
	v_sub_nc_u32_e32 v10, v10, v12
	v_add_nc_u32_e32 v12, s33, v5
	s_delay_alu instid0(VALU_DEP_4) | instskip(SKIP_4) | instid1(VALU_DEP_1)
	v_sub_nc_u32_e32 v11, v11, v17
	ds_store_b32 v5, v10
	v_add_nc_u32_e32 v5, s31, v5
	v_subrev_nc_u32_e32 v17, s2, v11
	v_cmp_le_u32_e64 s0, s2, v11
	v_cndmask_b32_e64 v14, v14, v19, s0
	s_delay_alu instid0(VALU_DEP_3) | instskip(NEXT) | instid1(VALU_DEP_2)
	v_cndmask_b32_e64 v11, v11, v17, s0
	v_add_nc_u32_e32 v17, 1, v14
	s_delay_alu instid0(VALU_DEP_2) | instskip(NEXT) | instid1(VALU_DEP_2)
	v_cmp_le_u32_e32 vcc_lo, s2, v11
	v_cndmask_b32_e32 v11, v14, v17, vcc_lo
	v_cmp_le_i32_e32 vcc_lo, s7, v8
	s_delay_alu instid0(VALU_DEP_2) | instskip(SKIP_1) | instid1(VALU_DEP_1)
	v_xor_b32_e32 v11, v11, v13
	s_or_b32 s29, vcc_lo, s29
	v_sub_nc_u32_e32 v11, v11, v13
	ds_store_b32 v12, v11
	s_and_not1_b32 exec_lo, exec_lo, s29
	s_cbranch_execnz .LBB11_2
.LBB11_3:
	s_or_b32 exec_lo, exec_lo, s1
	v_cvt_f32_u32_e32 v4, s23
	v_add_nc_u32_e32 v5, s22, v2
	s_mov_b32 s28, exec_lo
	s_delay_alu instid0(VALU_DEP_2) | instskip(NEXT) | instid1(VALU_DEP_1)
	v_rcp_iflag_f32_e32 v10, v4
	v_mad_u32_u24 v11, v5, s12, v1
	v_cmpx_gt_i32_e64 s8, v3
	s_cbranch_execz .LBB11_13
; %bb.4:
	s_delay_alu instid0(VALU_DEP_2)
	v_mul_lo_u32 v5, v11, s3
	s_waitcnt_depctr 0xfff
	v_mul_f32_e32 v4, 0x4f7ffffe, v10
	s_sub_i32 s0, 0, s23
                                        ; implicit-def: $sgpr35
                                        ; implicit-def: $sgpr29
                                        ; implicit-def: $sgpr33
                                        ; implicit-def: $sgpr34
                                        ; implicit-def: $sgpr31
	s_mov_b32 s1, exec_lo
	v_add_nc_u32_e32 v7, v0, v5
	s_delay_alu instid0(VALU_DEP_2) | instskip(NEXT) | instid1(VALU_DEP_2)
	v_cvt_u32_f32_e32 v4, v4
	v_cmp_gt_i32_e32 vcc_lo, s8, v7
	s_delay_alu instid0(VALU_DEP_2) | instskip(SKIP_2) | instid1(VALU_DEP_3)
	v_mul_lo_u32 v6, s0, v4
	v_max_i32_e32 v8, s8, v7
	v_add_co_ci_u32_e64 v5, s0, v0, v5, vcc_lo
	v_mul_hi_u32 v6, v4, v6
	s_delay_alu instid0(VALU_DEP_2) | instskip(NEXT) | instid1(VALU_DEP_2)
	v_sub_nc_u32_e32 v5, v8, v5
	v_add_nc_u32_e32 v4, v4, v6
	s_delay_alu instid0(VALU_DEP_1) | instskip(NEXT) | instid1(VALU_DEP_1)
	v_mul_hi_u32 v4, v5, v4
	v_mul_lo_u32 v6, v4, s23
	s_delay_alu instid0(VALU_DEP_1) | instskip(SKIP_1) | instid1(VALU_DEP_2)
	v_sub_nc_u32_e32 v5, v5, v6
	v_add_nc_u32_e32 v6, 1, v4
	v_subrev_nc_u32_e32 v7, s23, v5
	v_cmp_le_u32_e64 s0, s23, v5
	s_delay_alu instid0(VALU_DEP_1) | instskip(NEXT) | instid1(VALU_DEP_3)
	v_cndmask_b32_e64 v4, v4, v6, s0
	v_cndmask_b32_e64 v5, v5, v7, s0
                                        ; implicit-def: $vgpr7
	s_delay_alu instid0(VALU_DEP_2) | instskip(NEXT) | instid1(VALU_DEP_2)
	v_add_nc_u32_e32 v6, 1, v4
	v_cmp_le_u32_e64 s0, s23, v5
	s_delay_alu instid0(VALU_DEP_1) | instskip(SKIP_1) | instid1(VALU_DEP_1)
	v_cndmask_b32_e64 v4, v4, v6, s0
	s_mov_b32 s0, 0
                                        ; implicit-def: $vgpr5_vgpr6
	v_add_co_ci_u32_e32 v12, vcc_lo, 1, v4, vcc_lo
	s_delay_alu instid0(VALU_DEP_1)
	v_cmpx_lt_u32_e32 1, v12
	s_xor_b32 s30, exec_lo, s1
	s_cbranch_execz .LBB11_8
; %bb.5:
	s_abs_i32 s29, s8
	v_dual_mov_b32 v6, 0 :: v_dual_and_b32 v13, -2, v12
	v_cvt_f32_u32_e32 v4, s29
	s_sub_i32 s0, 0, s29
	s_lshl_b32 s33, s7, 3
	s_lshl_b32 s34, s9, 1
	s_add_i32 s36, s8, -1
	v_rcp_iflag_f32_e32 v4, v4
	s_lshl_b32 s31, s23, 1
	s_mov_b32 s37, s6
	s_mov_b32 s38, s6
	;; [unrolled: 1-line block ×4, first 2 shown]
	s_ashr_i32 s35, s8, 31
	s_mov_b32 s41, 0
	s_lshl_b32 s42, s23, 2
	s_waitcnt_depctr 0xfff
	v_dual_mov_b32 v15, v13 :: v_dual_mul_f32 v4, 0x4f7ffffe, v4
	s_delay_alu instid0(VALU_DEP_1) | instskip(SKIP_2) | instid1(VALU_DEP_3)
	v_cvt_u32_f32_e32 v5, v4
	v_add_nc_u32_e32 v4, s23, v3
	v_lshlrev_b32_e32 v8, 1, v3
	v_mul_lo_u32 v7, s0, v5
	s_add_i32 s0, s33, s34
	s_delay_alu instid0(VALU_DEP_2) | instid1(SALU_CYCLE_1)
	v_add3_u32 v14, 0, s0, v8
	s_delay_alu instid0(VALU_DEP_2) | instskip(NEXT) | instid1(VALU_DEP_1)
	v_mul_hi_u32 v7, v5, v7
	v_dual_mov_b32 v8, v4 :: v_dual_add_nc_u32 v5, v5, v7
	v_mov_b32_e32 v7, v3
.LBB11_6:                               ; =>This Inner Loop Header: Depth=1
	s_delay_alu instid0(VALU_DEP_2) | instskip(NEXT) | instid1(VALU_DEP_2)
	v_mul_lo_u32 v4, v8, s38
	v_mul_lo_u32 v16, v7, s37
	v_add_nc_u32_e32 v8, s39, v8
	v_add_nc_u32_e32 v7, s31, v7
	v_add_nc_u32_e32 v15, -2, v15
	v_add3_u32 v17, s40, s38, v4
	v_add3_u32 v18, s36, s37, v16
	v_sub_nc_u32_e32 v20, 0, v16
	v_sub_nc_u32_e32 v22, 0, v4
	v_ashrrev_i32_e32 v19, 31, v16
	v_sub_nc_u32_e32 v26, 0, v17
	v_ashrrev_i32_e32 v21, 31, v4
	v_ashrrev_i32_e32 v23, 31, v18
	;; [unrolled: 1-line block ×3, first 2 shown]
	v_max_i32_e32 v16, v16, v20
	v_max_i32_e32 v4, v4, v22
	;; [unrolled: 1-line block ×3, first 2 shown]
	v_xor_b32_e32 v20, s35, v21
	v_xor_b32_e32 v22, s35, v23
	v_mul_hi_u32 v21, v16, v5
	v_mul_hi_u32 v23, v4, v5
	;; [unrolled: 1-line block ×3, first 2 shown]
	v_sub_nc_u32_e32 v24, 0, v18
	v_xor_b32_e32 v19, s35, v19
	v_mul_lo_u32 v27, v21, s29
	v_mul_lo_u32 v29, v23, s29
	;; [unrolled: 1-line block ×3, first 2 shown]
	v_max_i32_e32 v18, v18, v24
	v_xor_b32_e32 v24, s35, v25
	v_add_nc_u32_e32 v34, 1, v26
	s_delay_alu instid0(VALU_DEP_3) | instskip(SKIP_3) | instid1(VALU_DEP_3)
	v_mul_hi_u32 v25, v18, v5
	v_sub_nc_u32_e32 v16, v16, v27
	v_sub_nc_u32_e32 v4, v4, v29
	;; [unrolled: 1-line block ×3, first 2 shown]
	v_cmp_le_u32_e32 vcc_lo, s29, v16
	v_add_nc_u32_e32 v30, 1, v23
	s_delay_alu instid0(VALU_DEP_4) | instskip(NEXT) | instid1(VALU_DEP_4)
	v_cmp_le_u32_e64 s0, s29, v4
	v_cmp_le_u32_e64 s2, s29, v17
	v_mul_lo_u32 v31, v25, s29
	v_subrev_nc_u32_e32 v27, s29, v16
	v_add_nc_u32_e32 v33, 1, v25
	v_cndmask_b32_e64 v23, v23, v30, s0
	v_cndmask_b32_e64 v26, v26, v34, s2
	v_subrev_nc_u32_e32 v30, s29, v17
	v_cndmask_b32_e32 v16, v16, v27, vcc_lo
	v_sub_nc_u32_e32 v18, v18, v31
	s_delay_alu instid0(VALU_DEP_3) | instskip(SKIP_2) | instid1(VALU_DEP_4)
	v_cndmask_b32_e64 v17, v17, v30, s2
	v_add_nc_u32_e32 v30, 1, v26
	v_add_nc_u32_e32 v28, 1, v21
	v_cmp_le_u32_e64 s1, s29, v18
	v_subrev_nc_u32_e32 v29, s29, v18
	s_delay_alu instid0(VALU_DEP_3) | instskip(SKIP_1) | instid1(VALU_DEP_4)
	v_cndmask_b32_e32 v21, v21, v28, vcc_lo
	v_subrev_nc_u32_e32 v28, s29, v4
	v_cndmask_b32_e64 v25, v25, v33, s1
	v_cmp_le_u32_e32 vcc_lo, s29, v16
	v_cndmask_b32_e64 v18, v18, v29, s1
	s_delay_alu instid0(VALU_DEP_4) | instskip(SKIP_2) | instid1(VALU_DEP_1)
	v_cndmask_b32_e64 v4, v4, v28, s0
	v_add_nc_u32_e32 v28, 1, v23
	v_add_nc_u32_e32 v27, 1, v21
	v_dual_cndmask_b32 v16, v21, v27 :: v_dual_add_nc_u32 v29, 1, v25
	s_delay_alu instid0(VALU_DEP_4) | instskip(NEXT) | instid1(VALU_DEP_2)
	v_cmp_le_u32_e32 vcc_lo, s29, v4
	v_xor_b32_e32 v16, v16, v19
	v_cndmask_b32_e32 v4, v23, v28, vcc_lo
	v_cmp_le_u32_e32 vcc_lo, s29, v18
	s_delay_alu instid0(VALU_DEP_3) | instskip(NEXT) | instid1(VALU_DEP_3)
	v_sub_nc_u32_e32 v16, v19, v16
	v_xor_b32_e32 v4, v4, v20
	v_cndmask_b32_e32 v18, v25, v29, vcc_lo
	v_cmp_le_u32_e32 vcc_lo, s29, v17
	s_delay_alu instid0(VALU_DEP_3) | instskip(NEXT) | instid1(VALU_DEP_3)
	v_sub_nc_u32_e32 v4, v20, v4
	v_xor_b32_e32 v18, v18, v22
	v_cndmask_b32_e32 v17, v26, v30, vcc_lo
	s_delay_alu instid0(VALU_DEP_2) | instskip(NEXT) | instid1(VALU_DEP_2)
	v_sub_nc_u32_e32 v18, v18, v22
	v_xor_b32_e32 v17, v17, v24
	s_delay_alu instid0(VALU_DEP_2) | instskip(NEXT) | instid1(VALU_DEP_2)
	v_add_nc_u32_e32 v16, v18, v16
	v_sub_nc_u32_e32 v17, v17, v24
	s_delay_alu instid0(VALU_DEP_2) | instskip(NEXT) | instid1(VALU_DEP_2)
	v_cvt_f32_i32_e32 v16, v16
	v_add_nc_u32_e32 v4, v17, v4
	s_delay_alu instid0(VALU_DEP_2) | instskip(NEXT) | instid1(VALU_DEP_2)
	v_bfe_u32 v17, v16, 16, 1
	v_cvt_f32_i32_e32 v4, v4
	s_delay_alu instid0(VALU_DEP_2) | instskip(NEXT) | instid1(VALU_DEP_2)
	v_add3_u32 v16, v16, v17, 0x7fff
	v_bfe_u32 v18, v4, 16, 1
	s_delay_alu instid0(VALU_DEP_2) | instskip(NEXT) | instid1(VALU_DEP_2)
	v_and_b32_e32 v16, 0xffff0000, v16
	v_add3_u32 v4, v4, v18, 0x7fff
	s_delay_alu instid0(VALU_DEP_2) | instskip(NEXT) | instid1(VALU_DEP_2)
	v_div_scale_f32 v17, null, v16, v16, 1.0
	v_and_b32_e32 v4, 0xffff0000, v4
	v_div_scale_f32 v21, vcc_lo, 1.0, v16, 1.0
	s_delay_alu instid0(VALU_DEP_3) | instskip(NEXT) | instid1(VALU_DEP_2)
	v_rcp_f32_e32 v19, v17
	v_div_scale_f32 v18, null, v4, v4, 1.0
	v_div_scale_f32 v22, s0, 1.0, v4, 1.0
	s_delay_alu instid0(VALU_DEP_2) | instskip(SKIP_2) | instid1(VALU_DEP_1)
	v_rcp_f32_e32 v20, v18
	s_waitcnt_depctr 0xfff
	v_fma_f32 v23, -v17, v19, 1.0
	v_fmac_f32_e32 v19, v23, v19
	v_fma_f32 v24, -v18, v20, 1.0
	s_delay_alu instid0(VALU_DEP_1) | instskip(NEXT) | instid1(VALU_DEP_1)
	v_dual_mul_f32 v23, v21, v19 :: v_dual_fmac_f32 v20, v24, v20
	v_fma_f32 v25, -v17, v23, v21
	s_delay_alu instid0(VALU_DEP_1) | instskip(NEXT) | instid1(VALU_DEP_1)
	v_dual_mul_f32 v24, v22, v20 :: v_dual_fmac_f32 v23, v25, v19
	v_fma_f32 v26, -v18, v24, v22
	s_delay_alu instid0(VALU_DEP_2) | instskip(NEXT) | instid1(VALU_DEP_2)
	v_fma_f32 v17, -v17, v23, v21
	v_fmac_f32_e32 v24, v26, v20
	s_delay_alu instid0(VALU_DEP_2) | instskip(SKIP_1) | instid1(VALU_DEP_2)
	v_div_fmas_f32 v17, v17, v19, v23
	s_mov_b32 vcc_lo, s0
	v_fma_f32 v18, -v18, v24, v22
	s_delay_alu instid0(VALU_DEP_2) | instskip(NEXT) | instid1(VALU_DEP_2)
	v_div_fixup_f32 v16, v17, v16, 1.0
	v_div_fmas_f32 v18, v18, v20, v24
	s_delay_alu instid0(VALU_DEP_2) | instskip(SKIP_1) | instid1(VALU_DEP_3)
	v_bfe_u32 v17, v16, 16, 1
	v_cmp_o_f32_e32 vcc_lo, v16, v16
	v_div_fixup_f32 v4, v18, v4, 1.0
	v_add_nc_u32_e32 v18, s31, v14
	s_delay_alu instid0(VALU_DEP_4) | instskip(NEXT) | instid1(VALU_DEP_3)
	v_add3_u32 v17, v16, v17, 0x7fff
	v_bfe_u32 v19, v4, 16, 1
	v_cmp_o_f32_e64 s0, v4, v4
	s_delay_alu instid0(VALU_DEP_3) | instskip(NEXT) | instid1(VALU_DEP_3)
	v_lshrrev_b32_e32 v17, 16, v17
	v_add3_u32 v19, v4, v19, 0x7fff
	s_delay_alu instid0(VALU_DEP_2) | instskip(SKIP_1) | instid1(VALU_DEP_3)
	v_cndmask_b32_e32 v17, 0x7fc0, v17, vcc_lo
	v_cmp_eq_u32_e32 vcc_lo, 0, v15
	v_lshrrev_b32_e32 v16, 16, v19
	ds_store_b16 v14, v17
	v_add_nc_u32_e32 v14, s42, v14
	v_cndmask_b32_e64 v4, 0x7fc0, v16, s0
	s_or_b32 s41, vcc_lo, s41
	ds_store_b16 v18, v4
	s_and_not1_b32 exec_lo, exec_lo, s41
	s_cbranch_execnz .LBB11_6
; %bb.7:
	s_or_b32 exec_lo, exec_lo, s41
	v_mad_u64_u32 v[7:8], null, v13, s23, v[3:4]
	v_cmp_ne_u32_e32 vcc_lo, v12, v13
	s_and_b32 s0, vcc_lo, exec_lo
.LBB11_8:
	s_or_saveexec_b32 s1, s30
	v_dual_mov_b32 v4, s35 :: v_dual_mov_b32 v15, s34
	v_mov_b32_e32 v8, s29
	v_mov_b32_e32 v14, s33
	;; [unrolled: 1-line block ×3, first 2 shown]
	s_xor_b32 exec_lo, exec_lo, s1
	s_cbranch_execz .LBB11_10
; %bb.9:
	s_abs_i32 s2, s8
	s_lshl_b32 s31, s9, 1
	v_cvt_f32_u32_e32 v4, s2
	s_sub_i32 s29, 0, s2
	s_lshl_b32 s30, s7, 3
	s_lshl_b32 s33, s23, 1
	v_mov_b32_e32 v8, s2
	v_rcp_iflag_f32_e32 v4, v4
	v_mov_b32_e32 v14, s30
	v_mov_b32_e32 v12, s33
	s_or_b32 s0, s0, exec_lo
	s_waitcnt_depctr 0xfff
	v_dual_mov_b32 v15, s31 :: v_dual_mul_f32 v4, 0x4f7ffffe, v4
	s_delay_alu instid0(VALU_DEP_1) | instskip(NEXT) | instid1(VALU_DEP_1)
	v_cvt_u32_f32_e32 v5, v4
	v_mul_lo_u32 v4, s29, v5
	s_ashr_i32 s29, s8, 31
	s_delay_alu instid0(VALU_DEP_1) | instskip(SKIP_1) | instid1(VALU_DEP_2)
	v_mul_hi_u32 v7, v5, v4
	v_mov_b32_e32 v6, 0
	v_dual_mov_b32 v4, s29 :: v_dual_add_nc_u32 v5, v5, v7
	v_mov_b32_e32 v7, v3
.LBB11_10:
	s_or_b32 exec_lo, exec_lo, s1
	s_delay_alu instid0(SALU_CYCLE_1)
	s_and_b32 exec_lo, exec_lo, s0
	s_cbranch_execz .LBB11_13
; %bb.11:
	s_delay_alu instid0(VALU_DEP_1)
	v_mul_lo_u32 v13, v7, s6
	v_lshl_add_u32 v16, v7, 1, v14
	s_add_i32 s1, s8, s6
	s_mul_i32 s0, s6, s12
	s_mov_b32 s2, 0
	s_mul_i32 s0, s0, s3
	v_add3_u32 v15, v16, v15, 0
	s_mov_b32 s29, 0
	v_add3_u32 v14, s1, v13, -1
	s_mul_i32 s1, s0, s22
.LBB11_12:                              ; =>This Inner Loop Header: Depth=1
	s_delay_alu instid0(VALU_DEP_1) | instskip(SKIP_3) | instid1(VALU_DEP_3)
	v_add_nc_u32_e32 v16, s29, v14
	v_add_nc_u32_e32 v17, s29, v13
	s_add_i32 s29, s29, s1
	v_add_nc_u32_e32 v7, s23, v7
	v_sub_nc_u32_e32 v18, 0, v16
	s_delay_alu instid0(VALU_DEP_3) | instskip(SKIP_2) | instid1(VALU_DEP_4)
	v_sub_nc_u32_e32 v20, 0, v17
	v_ashrrev_i32_e32 v19, 31, v16
	v_ashrrev_i32_e32 v21, 31, v17
	v_max_i32_e32 v22, v16, v18
	s_delay_alu instid0(VALU_DEP_4) | instskip(NEXT) | instid1(VALU_DEP_4)
	v_max_i32_e32 v23, v17, v20
	v_xor_b32_e32 v24, v19, v4
	s_delay_alu instid0(VALU_DEP_3) | instskip(NEXT) | instid1(VALU_DEP_3)
	v_mul_hi_u32 v16, v22, v5
	v_mul_hi_u32 v17, v23, v5
	s_delay_alu instid0(VALU_DEP_1) | instskip(SKIP_1) | instid1(VALU_DEP_2)
	v_mad_u64_u32 v[18:19], null, v22, v6, v[16:17]
	v_xor_b32_e32 v16, v21, v4
	v_mad_u64_u32 v[19:20], null, v23, v6, v[17:18]
	v_mul_lo_u32 v17, v18, v8
	v_add_nc_u32_e32 v21, 1, v18
	s_delay_alu instid0(VALU_DEP_3) | instskip(NEXT) | instid1(VALU_DEP_3)
	v_mul_lo_u32 v20, v19, v8
	v_sub_nc_u32_e32 v17, v22, v17
	s_delay_alu instid0(VALU_DEP_1) | instskip(SKIP_1) | instid1(VALU_DEP_4)
	v_cmp_ge_u32_e32 vcc_lo, v17, v8
	v_add_nc_u32_e32 v25, 1, v19
	v_sub_nc_u32_e32 v20, v23, v20
	v_cndmask_b32_e32 v18, v18, v21, vcc_lo
	v_sub_nc_u32_e32 v21, v17, v8
	s_delay_alu instid0(VALU_DEP_3) | instskip(SKIP_1) | instid1(VALU_DEP_3)
	v_sub_nc_u32_e32 v22, v20, v8
	v_cmp_ge_u32_e64 s0, v20, v8
	v_cndmask_b32_e32 v17, v17, v21, vcc_lo
	v_add_nc_u32_e32 v21, 1, v18
	s_delay_alu instid0(VALU_DEP_3) | instskip(SKIP_1) | instid1(VALU_DEP_4)
	v_cndmask_b32_e64 v19, v19, v25, s0
	v_cndmask_b32_e64 v20, v20, v22, s0
	v_cmp_ge_u32_e32 vcc_lo, v17, v8
	s_delay_alu instid0(VALU_DEP_3) | instskip(NEXT) | instid1(VALU_DEP_3)
	v_dual_cndmask_b32 v17, v18, v21 :: v_dual_add_nc_u32 v22, 1, v19
	v_cmp_ge_u32_e32 vcc_lo, v20, v8
	s_delay_alu instid0(VALU_DEP_2) | instskip(NEXT) | instid1(VALU_DEP_3)
	v_xor_b32_e32 v17, v17, v24
	v_cndmask_b32_e32 v18, v19, v22, vcc_lo
	s_delay_alu instid0(VALU_DEP_2) | instskip(NEXT) | instid1(VALU_DEP_2)
	v_sub_nc_u32_e32 v17, v17, v24
	v_xor_b32_e32 v18, v18, v16
	s_delay_alu instid0(VALU_DEP_1) | instskip(NEXT) | instid1(VALU_DEP_1)
	v_sub_nc_u32_e32 v16, v16, v18
	v_add_nc_u32_e32 v16, v17, v16
	s_delay_alu instid0(VALU_DEP_1) | instskip(NEXT) | instid1(VALU_DEP_1)
	v_cvt_f32_i32_e32 v16, v16
	v_bfe_u32 v17, v16, 16, 1
	s_delay_alu instid0(VALU_DEP_1) | instskip(NEXT) | instid1(VALU_DEP_1)
	v_add3_u32 v16, v16, v17, 0x7fff
	v_and_b32_e32 v16, 0xffff0000, v16
	s_delay_alu instid0(VALU_DEP_1) | instskip(SKIP_1) | instid1(VALU_DEP_2)
	v_div_scale_f32 v17, null, v16, v16, 1.0
	v_div_scale_f32 v20, vcc_lo, 1.0, v16, 1.0
	v_rcp_f32_e32 v18, v17
	s_waitcnt_depctr 0xfff
	v_fma_f32 v19, -v17, v18, 1.0
	s_delay_alu instid0(VALU_DEP_1) | instskip(NEXT) | instid1(VALU_DEP_1)
	v_fmac_f32_e32 v18, v19, v18
	v_mul_f32_e32 v19, v20, v18
	s_delay_alu instid0(VALU_DEP_1) | instskip(NEXT) | instid1(VALU_DEP_1)
	v_fma_f32 v21, -v17, v19, v20
	v_fmac_f32_e32 v19, v21, v18
	s_delay_alu instid0(VALU_DEP_1) | instskip(NEXT) | instid1(VALU_DEP_1)
	v_fma_f32 v17, -v17, v19, v20
	v_div_fmas_f32 v17, v17, v18, v19
	s_delay_alu instid0(VALU_DEP_1) | instskip(NEXT) | instid1(VALU_DEP_1)
	v_div_fixup_f32 v16, v17, v16, 1.0
	v_bfe_u32 v17, v16, 16, 1
	v_cmp_o_f32_e32 vcc_lo, v16, v16
	s_delay_alu instid0(VALU_DEP_2) | instskip(NEXT) | instid1(VALU_DEP_1)
	v_add3_u32 v17, v16, v17, 0x7fff
	v_lshrrev_b32_e32 v17, 16, v17
	s_delay_alu instid0(VALU_DEP_1) | instskip(SKIP_4) | instid1(SALU_CYCLE_1)
	v_cndmask_b32_e32 v16, 0x7fc0, v17, vcc_lo
	v_cmp_le_i32_e32 vcc_lo, s8, v7
	ds_store_b16 v15, v16
	v_add_nc_u32_e32 v15, v15, v12
	s_or_b32 s2, vcc_lo, s2
	s_and_not1_b32 exec_lo, exec_lo, s2
	s_cbranch_execnz .LBB11_12
.LBB11_13:
	s_or_b32 exec_lo, exec_lo, s28
	s_delay_alu instid0(SALU_CYCLE_1)
	s_mov_b32 s28, exec_lo
	v_cmpx_gt_i32_e64 s9, v3
	s_cbranch_execz .LBB11_23
; %bb.14:
	v_mul_lo_u32 v5, v11, s3
	s_waitcnt_depctr 0xfff
	v_mul_f32_e32 v4, 0x4f7ffffe, v10
	s_sub_i32 s0, 0, s23
                                        ; implicit-def: $sgpr34
                                        ; implicit-def: $sgpr30
                                        ; implicit-def: $sgpr33
                                        ; implicit-def: $sgpr31
	s_mov_b32 s1, exec_lo
	v_add_nc_u32_e32 v7, v0, v5
	s_delay_alu instid0(VALU_DEP_2) | instskip(NEXT) | instid1(VALU_DEP_2)
	v_cvt_u32_f32_e32 v4, v4
	v_cmp_gt_i32_e32 vcc_lo, s9, v7
	s_delay_alu instid0(VALU_DEP_2) | instskip(SKIP_2) | instid1(VALU_DEP_3)
	v_mul_lo_u32 v6, s0, v4
	v_max_i32_e32 v8, s9, v7
	v_add_co_ci_u32_e64 v5, s0, v0, v5, vcc_lo
	v_mul_hi_u32 v6, v4, v6
	s_delay_alu instid0(VALU_DEP_2) | instskip(NEXT) | instid1(VALU_DEP_2)
	v_sub_nc_u32_e32 v5, v8, v5
	v_add_nc_u32_e32 v4, v4, v6
	s_delay_alu instid0(VALU_DEP_1) | instskip(NEXT) | instid1(VALU_DEP_1)
	v_mul_hi_u32 v4, v5, v4
	v_mul_lo_u32 v6, v4, s23
	s_delay_alu instid0(VALU_DEP_1) | instskip(SKIP_1) | instid1(VALU_DEP_2)
	v_sub_nc_u32_e32 v5, v5, v6
	v_add_nc_u32_e32 v6, 1, v4
	v_subrev_nc_u32_e32 v7, s23, v5
	v_cmp_le_u32_e64 s0, s23, v5
	s_delay_alu instid0(VALU_DEP_1) | instskip(NEXT) | instid1(VALU_DEP_3)
	v_cndmask_b32_e64 v4, v4, v6, s0
	v_cndmask_b32_e64 v5, v5, v7, s0
                                        ; implicit-def: $vgpr7
	s_delay_alu instid0(VALU_DEP_2) | instskip(NEXT) | instid1(VALU_DEP_2)
	v_add_nc_u32_e32 v6, 1, v4
	v_cmp_le_u32_e64 s0, s23, v5
	s_delay_alu instid0(VALU_DEP_1) | instskip(SKIP_1) | instid1(VALU_DEP_1)
	v_cndmask_b32_e64 v4, v4, v6, s0
	s_mov_b32 s0, 0
                                        ; implicit-def: $vgpr5_vgpr6
	v_add_co_ci_u32_e32 v10, vcc_lo, 1, v4, vcc_lo
	s_delay_alu instid0(VALU_DEP_1)
	v_cmpx_lt_u32_e32 1, v10
	s_xor_b32 s29, exec_lo, s1
	s_cbranch_execz .LBB11_18
; %bb.15:
	s_abs_i32 s30, s9
	s_lshl_b32 s33, s7, 3
	v_cvt_f32_u32_e32 v4, s30
	s_sub_i32 s0, 0, s30
	s_add_i32 s35, s9, -1
	s_lshl_b32 s31, s23, 1
	s_mov_b32 s36, s7
	v_rcp_iflag_f32_e32 v4, v4
	s_mov_b32 s37, s7
	s_mov_b32 s38, s31
	;; [unrolled: 1-line block ×3, first 2 shown]
	s_ashr_i32 s34, s9, 31
	s_mov_b32 s40, 0
	s_lshl_b32 s41, s23, 2
	s_waitcnt_depctr 0xfff
	v_dual_mul_f32 v4, 0x4f7ffffe, v4 :: v_dual_and_b32 v11, -2, v10
	s_delay_alu instid0(VALU_DEP_1) | instskip(NEXT) | instid1(VALU_DEP_2)
	v_mov_b32_e32 v13, v11
	v_cvt_u32_f32_e32 v5, v4
	v_add_nc_u32_e32 v4, s23, v3
	v_lshlrev_b32_e32 v8, 1, v3
	s_delay_alu instid0(VALU_DEP_3) | instskip(NEXT) | instid1(VALU_DEP_2)
	v_mul_lo_u32 v6, s0, v5
	v_add3_u32 v12, 0, s33, v8
	s_delay_alu instid0(VALU_DEP_2) | instskip(NEXT) | instid1(VALU_DEP_1)
	v_mul_hi_u32 v7, v5, v6
	v_dual_mov_b32 v6, 0 :: v_dual_add_nc_u32 v5, v5, v7
	v_dual_mov_b32 v8, v4 :: v_dual_mov_b32 v7, v3
.LBB11_16:                              ; =>This Inner Loop Header: Depth=1
	s_delay_alu instid0(VALU_DEP_1) | instskip(NEXT) | instid1(VALU_DEP_2)
	v_mul_lo_u32 v4, v8, s37
	v_mul_lo_u32 v14, v7, s36
	v_add_nc_u32_e32 v8, s38, v8
	v_add_nc_u32_e32 v13, -2, v13
	v_add_nc_u32_e32 v7, s31, v7
	v_add3_u32 v15, s39, s37, v4
	v_add3_u32 v16, s35, s36, v14
	v_sub_nc_u32_e32 v18, 0, v14
	v_sub_nc_u32_e32 v20, 0, v4
	v_ashrrev_i32_e32 v17, 31, v14
	v_sub_nc_u32_e32 v24, 0, v15
	v_ashrrev_i32_e32 v19, 31, v4
	v_ashrrev_i32_e32 v21, 31, v16
	;; [unrolled: 1-line block ×3, first 2 shown]
	v_max_i32_e32 v14, v14, v18
	v_max_i32_e32 v4, v4, v20
	;; [unrolled: 1-line block ×3, first 2 shown]
	v_xor_b32_e32 v18, s34, v19
	v_xor_b32_e32 v20, s34, v21
	v_mul_hi_u32 v19, v14, v5
	v_mul_hi_u32 v21, v4, v5
	;; [unrolled: 1-line block ×3, first 2 shown]
	v_sub_nc_u32_e32 v22, 0, v16
	v_xor_b32_e32 v17, s34, v17
	v_mul_lo_u32 v25, v19, s30
	v_mul_lo_u32 v27, v21, s30
	v_mul_lo_u32 v30, v24, s30
	v_max_i32_e32 v16, v16, v22
	v_xor_b32_e32 v22, s34, v23
	v_add_nc_u32_e32 v32, 1, v24
	s_delay_alu instid0(VALU_DEP_3) | instskip(SKIP_3) | instid1(VALU_DEP_3)
	v_mul_hi_u32 v23, v16, v5
	v_sub_nc_u32_e32 v14, v14, v25
	v_sub_nc_u32_e32 v4, v4, v27
	;; [unrolled: 1-line block ×3, first 2 shown]
	v_cmp_le_u32_e32 vcc_lo, s30, v14
	v_add_nc_u32_e32 v28, 1, v21
	s_delay_alu instid0(VALU_DEP_4) | instskip(NEXT) | instid1(VALU_DEP_4)
	v_cmp_le_u32_e64 s0, s30, v4
	v_cmp_le_u32_e64 s2, s30, v15
	v_mul_lo_u32 v29, v23, s30
	v_subrev_nc_u32_e32 v25, s30, v14
	v_add_nc_u32_e32 v31, 1, v23
	v_cndmask_b32_e64 v21, v21, v28, s0
	v_cndmask_b32_e64 v24, v24, v32, s2
	v_subrev_nc_u32_e32 v28, s30, v15
	v_cndmask_b32_e32 v14, v14, v25, vcc_lo
	v_sub_nc_u32_e32 v16, v16, v29
	s_delay_alu instid0(VALU_DEP_3) | instskip(SKIP_2) | instid1(VALU_DEP_4)
	v_cndmask_b32_e64 v15, v15, v28, s2
	v_add_nc_u32_e32 v28, 1, v24
	v_add_nc_u32_e32 v26, 1, v19
	v_cmp_le_u32_e64 s1, s30, v16
	v_subrev_nc_u32_e32 v27, s30, v16
	s_delay_alu instid0(VALU_DEP_3) | instskip(SKIP_1) | instid1(VALU_DEP_4)
	v_cndmask_b32_e32 v19, v19, v26, vcc_lo
	v_subrev_nc_u32_e32 v26, s30, v4
	v_cndmask_b32_e64 v23, v23, v31, s1
	v_cmp_le_u32_e32 vcc_lo, s30, v14
	v_cndmask_b32_e64 v16, v16, v27, s1
	s_delay_alu instid0(VALU_DEP_4) | instskip(SKIP_2) | instid1(VALU_DEP_1)
	v_cndmask_b32_e64 v4, v4, v26, s0
	v_add_nc_u32_e32 v26, 1, v21
	v_add_nc_u32_e32 v25, 1, v19
	v_dual_cndmask_b32 v14, v19, v25 :: v_dual_add_nc_u32 v27, 1, v23
	s_delay_alu instid0(VALU_DEP_4) | instskip(NEXT) | instid1(VALU_DEP_2)
	v_cmp_le_u32_e32 vcc_lo, s30, v4
	v_xor_b32_e32 v14, v14, v17
	v_cndmask_b32_e32 v4, v21, v26, vcc_lo
	v_cmp_le_u32_e32 vcc_lo, s30, v16
	s_delay_alu instid0(VALU_DEP_3) | instskip(NEXT) | instid1(VALU_DEP_3)
	v_sub_nc_u32_e32 v14, v17, v14
	v_xor_b32_e32 v4, v4, v18
	v_cndmask_b32_e32 v16, v23, v27, vcc_lo
	v_cmp_le_u32_e32 vcc_lo, s30, v15
	s_delay_alu instid0(VALU_DEP_3) | instskip(NEXT) | instid1(VALU_DEP_3)
	v_sub_nc_u32_e32 v4, v18, v4
	v_xor_b32_e32 v16, v16, v20
	v_cndmask_b32_e32 v15, v24, v28, vcc_lo
	s_delay_alu instid0(VALU_DEP_2) | instskip(NEXT) | instid1(VALU_DEP_2)
	v_sub_nc_u32_e32 v16, v16, v20
	v_xor_b32_e32 v15, v15, v22
	s_delay_alu instid0(VALU_DEP_2) | instskip(NEXT) | instid1(VALU_DEP_2)
	v_add_nc_u32_e32 v14, v16, v14
	v_sub_nc_u32_e32 v15, v15, v22
	s_delay_alu instid0(VALU_DEP_2) | instskip(NEXT) | instid1(VALU_DEP_2)
	v_cvt_f32_i32_e32 v14, v14
	v_add_nc_u32_e32 v4, v15, v4
	s_delay_alu instid0(VALU_DEP_2) | instskip(NEXT) | instid1(VALU_DEP_2)
	v_bfe_u32 v15, v14, 16, 1
	v_cvt_f32_i32_e32 v4, v4
	s_delay_alu instid0(VALU_DEP_2) | instskip(NEXT) | instid1(VALU_DEP_2)
	v_add3_u32 v14, v14, v15, 0x7fff
	v_bfe_u32 v16, v4, 16, 1
	s_delay_alu instid0(VALU_DEP_2) | instskip(NEXT) | instid1(VALU_DEP_2)
	v_and_b32_e32 v14, 0xffff0000, v14
	v_add3_u32 v4, v4, v16, 0x7fff
	s_delay_alu instid0(VALU_DEP_2) | instskip(NEXT) | instid1(VALU_DEP_2)
	v_div_scale_f32 v15, null, v14, v14, 1.0
	v_and_b32_e32 v4, 0xffff0000, v4
	v_div_scale_f32 v19, vcc_lo, 1.0, v14, 1.0
	s_delay_alu instid0(VALU_DEP_3) | instskip(NEXT) | instid1(VALU_DEP_2)
	v_rcp_f32_e32 v17, v15
	v_div_scale_f32 v16, null, v4, v4, 1.0
	v_div_scale_f32 v20, s0, 1.0, v4, 1.0
	s_delay_alu instid0(VALU_DEP_2) | instskip(SKIP_2) | instid1(VALU_DEP_1)
	v_rcp_f32_e32 v18, v16
	s_waitcnt_depctr 0xfff
	v_fma_f32 v21, -v15, v17, 1.0
	v_fmac_f32_e32 v17, v21, v17
	v_fma_f32 v22, -v16, v18, 1.0
	s_delay_alu instid0(VALU_DEP_1) | instskip(NEXT) | instid1(VALU_DEP_1)
	v_dual_mul_f32 v21, v19, v17 :: v_dual_fmac_f32 v18, v22, v18
	v_fma_f32 v23, -v15, v21, v19
	s_delay_alu instid0(VALU_DEP_1) | instskip(NEXT) | instid1(VALU_DEP_1)
	v_dual_mul_f32 v22, v20, v18 :: v_dual_fmac_f32 v21, v23, v17
	v_fma_f32 v24, -v16, v22, v20
	s_delay_alu instid0(VALU_DEP_2) | instskip(NEXT) | instid1(VALU_DEP_2)
	v_fma_f32 v15, -v15, v21, v19
	v_fmac_f32_e32 v22, v24, v18
	s_delay_alu instid0(VALU_DEP_2) | instskip(SKIP_1) | instid1(VALU_DEP_2)
	v_div_fmas_f32 v15, v15, v17, v21
	s_mov_b32 vcc_lo, s0
	v_fma_f32 v16, -v16, v22, v20
	s_delay_alu instid0(VALU_DEP_2) | instskip(NEXT) | instid1(VALU_DEP_2)
	v_div_fixup_f32 v14, v15, v14, 1.0
	v_div_fmas_f32 v16, v16, v18, v22
	s_delay_alu instid0(VALU_DEP_2) | instskip(SKIP_1) | instid1(VALU_DEP_3)
	v_bfe_u32 v15, v14, 16, 1
	v_cmp_o_f32_e32 vcc_lo, v14, v14
	v_div_fixup_f32 v4, v16, v4, 1.0
	v_add_nc_u32_e32 v16, s31, v12
	s_delay_alu instid0(VALU_DEP_4) | instskip(NEXT) | instid1(VALU_DEP_3)
	v_add3_u32 v15, v14, v15, 0x7fff
	v_bfe_u32 v17, v4, 16, 1
	v_cmp_o_f32_e64 s0, v4, v4
	s_delay_alu instid0(VALU_DEP_3) | instskip(NEXT) | instid1(VALU_DEP_3)
	v_lshrrev_b32_e32 v15, 16, v15
	v_add3_u32 v17, v4, v17, 0x7fff
	s_delay_alu instid0(VALU_DEP_2) | instskip(SKIP_1) | instid1(VALU_DEP_3)
	v_cndmask_b32_e32 v15, 0x7fc0, v15, vcc_lo
	v_cmp_eq_u32_e32 vcc_lo, 0, v13
	v_lshrrev_b32_e32 v14, 16, v17
	ds_store_b16 v12, v15
	v_add_nc_u32_e32 v12, s41, v12
	v_cndmask_b32_e64 v4, 0x7fc0, v14, s0
	s_or_b32 s40, vcc_lo, s40
	ds_store_b16 v16, v4
	s_and_not1_b32 exec_lo, exec_lo, s40
	s_cbranch_execnz .LBB11_16
; %bb.17:
	s_or_b32 exec_lo, exec_lo, s40
	v_mad_u64_u32 v[7:8], null, v11, s23, v[3:4]
	v_cmp_ne_u32_e32 vcc_lo, v10, v11
	s_and_b32 s0, vcc_lo, exec_lo
.LBB11_18:
	s_or_saveexec_b32 s1, s29
	v_dual_mov_b32 v4, s34 :: v_dual_mov_b32 v13, s33
	v_mov_b32_e32 v8, s30
	v_mov_b32_e32 v10, s31
	s_xor_b32 exec_lo, exec_lo, s1
	s_cbranch_execz .LBB11_20
; %bb.19:
	s_abs_i32 s2, s9
	s_lshl_b32 s30, s7, 3
	v_cvt_f32_u32_e32 v4, s2
	s_sub_i32 s29, 0, s2
	s_lshl_b32 s31, s23, 1
	v_mov_b32_e32 v8, s2
	v_mov_b32_e32 v10, s31
	v_rcp_iflag_f32_e32 v4, v4
	s_or_b32 s0, s0, exec_lo
	s_waitcnt_depctr 0xfff
	v_dual_mov_b32 v13, s30 :: v_dual_mul_f32 v4, 0x4f7ffffe, v4
	s_delay_alu instid0(VALU_DEP_1) | instskip(NEXT) | instid1(VALU_DEP_1)
	v_cvt_u32_f32_e32 v5, v4
	v_mul_lo_u32 v4, s29, v5
	s_ashr_i32 s29, s9, 31
	s_delay_alu instid0(VALU_DEP_1) | instskip(SKIP_1) | instid1(VALU_DEP_2)
	v_mul_hi_u32 v7, v5, v4
	v_mov_b32_e32 v6, 0
	v_dual_mov_b32 v4, s29 :: v_dual_add_nc_u32 v5, v5, v7
	v_mov_b32_e32 v7, v3
.LBB11_20:
	s_or_b32 exec_lo, exec_lo, s1
	s_delay_alu instid0(SALU_CYCLE_1)
	s_and_b32 exec_lo, exec_lo, s0
	s_cbranch_execz .LBB11_23
; %bb.21:
	s_delay_alu instid0(VALU_DEP_1)
	v_mul_lo_u32 v11, v7, s7
	v_lshlrev_b32_e32 v14, 1, v7
	s_add_i32 s1, s9, s7
	s_mul_i32 s0, s7, s12
	s_mov_b32 s2, 0
	s_mul_i32 s0, s0, s3
	v_add3_u32 v13, v13, v14, 0
	s_mov_b32 s29, 0
	v_add3_u32 v12, s1, v11, -1
	s_mul_i32 s1, s0, s22
.LBB11_22:                              ; =>This Inner Loop Header: Depth=1
	s_delay_alu instid0(VALU_DEP_1) | instskip(SKIP_3) | instid1(VALU_DEP_3)
	v_add_nc_u32_e32 v14, s29, v12
	v_add_nc_u32_e32 v15, s29, v11
	s_add_i32 s29, s29, s1
	v_add_nc_u32_e32 v7, s23, v7
	v_sub_nc_u32_e32 v16, 0, v14
	s_delay_alu instid0(VALU_DEP_3) | instskip(SKIP_2) | instid1(VALU_DEP_4)
	v_sub_nc_u32_e32 v18, 0, v15
	v_ashrrev_i32_e32 v17, 31, v14
	v_ashrrev_i32_e32 v19, 31, v15
	v_max_i32_e32 v20, v14, v16
	s_delay_alu instid0(VALU_DEP_4) | instskip(NEXT) | instid1(VALU_DEP_4)
	v_max_i32_e32 v21, v15, v18
	v_xor_b32_e32 v22, v17, v4
	s_delay_alu instid0(VALU_DEP_3) | instskip(NEXT) | instid1(VALU_DEP_3)
	v_mul_hi_u32 v14, v20, v5
	v_mul_hi_u32 v15, v21, v5
	s_delay_alu instid0(VALU_DEP_1) | instskip(SKIP_1) | instid1(VALU_DEP_2)
	v_mad_u64_u32 v[16:17], null, v20, v6, v[14:15]
	v_xor_b32_e32 v14, v19, v4
	v_mad_u64_u32 v[17:18], null, v21, v6, v[15:16]
	v_mul_lo_u32 v15, v16, v8
	v_add_nc_u32_e32 v19, 1, v16
	s_delay_alu instid0(VALU_DEP_3) | instskip(NEXT) | instid1(VALU_DEP_3)
	v_mul_lo_u32 v18, v17, v8
	v_sub_nc_u32_e32 v15, v20, v15
	s_delay_alu instid0(VALU_DEP_1) | instskip(SKIP_1) | instid1(VALU_DEP_4)
	v_cmp_ge_u32_e32 vcc_lo, v15, v8
	v_add_nc_u32_e32 v23, 1, v17
	v_sub_nc_u32_e32 v18, v21, v18
	v_cndmask_b32_e32 v16, v16, v19, vcc_lo
	v_sub_nc_u32_e32 v19, v15, v8
	s_delay_alu instid0(VALU_DEP_3) | instskip(SKIP_1) | instid1(VALU_DEP_3)
	v_sub_nc_u32_e32 v20, v18, v8
	v_cmp_ge_u32_e64 s0, v18, v8
	v_cndmask_b32_e32 v15, v15, v19, vcc_lo
	v_add_nc_u32_e32 v19, 1, v16
	s_delay_alu instid0(VALU_DEP_3) | instskip(SKIP_1) | instid1(VALU_DEP_4)
	v_cndmask_b32_e64 v17, v17, v23, s0
	v_cndmask_b32_e64 v18, v18, v20, s0
	v_cmp_ge_u32_e32 vcc_lo, v15, v8
	s_delay_alu instid0(VALU_DEP_3) | instskip(NEXT) | instid1(VALU_DEP_3)
	v_dual_cndmask_b32 v15, v16, v19 :: v_dual_add_nc_u32 v20, 1, v17
	v_cmp_ge_u32_e32 vcc_lo, v18, v8
	s_delay_alu instid0(VALU_DEP_2) | instskip(NEXT) | instid1(VALU_DEP_3)
	v_xor_b32_e32 v15, v15, v22
	v_cndmask_b32_e32 v16, v17, v20, vcc_lo
	s_delay_alu instid0(VALU_DEP_2) | instskip(NEXT) | instid1(VALU_DEP_2)
	v_sub_nc_u32_e32 v15, v15, v22
	v_xor_b32_e32 v16, v16, v14
	s_delay_alu instid0(VALU_DEP_1) | instskip(NEXT) | instid1(VALU_DEP_1)
	v_sub_nc_u32_e32 v14, v14, v16
	v_add_nc_u32_e32 v14, v15, v14
	s_delay_alu instid0(VALU_DEP_1) | instskip(NEXT) | instid1(VALU_DEP_1)
	v_cvt_f32_i32_e32 v14, v14
	v_bfe_u32 v15, v14, 16, 1
	s_delay_alu instid0(VALU_DEP_1) | instskip(NEXT) | instid1(VALU_DEP_1)
	v_add3_u32 v14, v14, v15, 0x7fff
	v_and_b32_e32 v14, 0xffff0000, v14
	s_delay_alu instid0(VALU_DEP_1) | instskip(SKIP_1) | instid1(VALU_DEP_2)
	v_div_scale_f32 v15, null, v14, v14, 1.0
	v_div_scale_f32 v18, vcc_lo, 1.0, v14, 1.0
	v_rcp_f32_e32 v16, v15
	s_waitcnt_depctr 0xfff
	v_fma_f32 v17, -v15, v16, 1.0
	s_delay_alu instid0(VALU_DEP_1) | instskip(NEXT) | instid1(VALU_DEP_1)
	v_fmac_f32_e32 v16, v17, v16
	v_mul_f32_e32 v17, v18, v16
	s_delay_alu instid0(VALU_DEP_1) | instskip(NEXT) | instid1(VALU_DEP_1)
	v_fma_f32 v19, -v15, v17, v18
	v_fmac_f32_e32 v17, v19, v16
	s_delay_alu instid0(VALU_DEP_1) | instskip(NEXT) | instid1(VALU_DEP_1)
	v_fma_f32 v15, -v15, v17, v18
	v_div_fmas_f32 v15, v15, v16, v17
	s_delay_alu instid0(VALU_DEP_1) | instskip(NEXT) | instid1(VALU_DEP_1)
	v_div_fixup_f32 v14, v15, v14, 1.0
	v_bfe_u32 v15, v14, 16, 1
	v_cmp_o_f32_e32 vcc_lo, v14, v14
	s_delay_alu instid0(VALU_DEP_2) | instskip(NEXT) | instid1(VALU_DEP_1)
	v_add3_u32 v15, v14, v15, 0x7fff
	v_lshrrev_b32_e32 v15, 16, v15
	s_delay_alu instid0(VALU_DEP_1) | instskip(SKIP_4) | instid1(SALU_CYCLE_1)
	v_cndmask_b32_e32 v14, 0x7fc0, v15, vcc_lo
	v_cmp_le_i32_e32 vcc_lo, s9, v7
	ds_store_b16 v13, v14
	v_add_nc_u32_e32 v13, v13, v10
	s_or_b32 s2, vcc_lo, s2
	s_and_not1_b32 exec_lo, exec_lo, s2
	s_cbranch_execnz .LBB11_22
.LBB11_23:
	s_or_b32 exec_lo, exec_lo, s28
	v_cvt_f32_u32_e32 v4, s4
	s_sub_i32 s1, 0, s4
	s_mov_b32 s28, exec_lo
	s_delay_alu instid0(VALU_DEP_1) | instskip(SKIP_2) | instid1(VALU_DEP_1)
	v_rcp_iflag_f32_e32 v4, v4
	s_waitcnt_depctr 0xfff
	v_mul_f32_e32 v4, 0x4f7ffffe, v4
	v_cvt_u32_f32_e32 v4, v4
	s_delay_alu instid0(VALU_DEP_1) | instskip(NEXT) | instid1(VALU_DEP_1)
	v_readfirstlane_b32 s0, v4
	s_mul_i32 s2, s1, s0
	s_mul_i32 s1, s23, s11
	s_mul_hi_u32 s2, s0, s2
	s_delay_alu instid0(SALU_CYCLE_1)
	s_add_i32 s0, s0, s2
	s_mov_b32 s2, 0
	s_mul_hi_u32 s0, s13, s0
	v_cmpx_gt_u32_e64 s1, v3
	s_cbranch_execz .LBB11_26
; %bb.24:
	s_lshl_b32 s29, s7, 3
	s_lshl_b32 s30, s9, 1
	v_dual_mov_b32 v5, 0 :: v_dual_lshlrev_b32 v4, 1, v3
	s_add_i32 s29, s29, s30
	s_lshl_b32 s30, s8, 1
	s_delay_alu instid0(SALU_CYCLE_1)
	s_add_i32 s29, s29, s30
	s_delay_alu instid0(VALU_DEP_1) | instid1(SALU_CYCLE_1)
	v_add3_u32 v4, 0, s29, v4
	s_lshl_b32 s29, s23, 1
.LBB11_25:                              ; =>This Inner Loop Header: Depth=1
	v_add_nc_u32_e32 v3, s23, v3
	ds_store_b16 v4, v5
	v_add_nc_u32_e32 v4, s29, v4
	v_cmp_le_u32_e32 vcc_lo, s1, v3
	s_or_b32 s2, vcc_lo, s2
	s_delay_alu instid0(SALU_CYCLE_1)
	s_and_not1_b32 exec_lo, exec_lo, s2
	s_cbranch_execnz .LBB11_25
.LBB11_26:
	s_or_b32 exec_lo, exec_lo, s28
	v_cvt_f32_u32_e32 v3, s21
	s_sub_i32 s2, 0, s21
	s_add_i32 s23, s6, -1
	s_waitcnt lgkmcnt(0)
	s_add_i32 s28, s23, s21
	v_rcp_iflag_f32_e32 v3, v3
	s_barrier
	buffer_gl0_inv
	v_mul_f32_e32 v3, 0x4f7ffffe, v3
	s_delay_alu instid0(VALU_DEP_1) | instskip(NEXT) | instid1(VALU_DEP_1)
	v_cvt_u32_f32_e32 v3, v3
	v_readfirstlane_b32 s1, v3
	v_cvt_f32_u32_e32 v3, s20
	s_delay_alu instid0(VALU_DEP_2) | instskip(NEXT) | instid1(VALU_DEP_1)
	s_mul_i32 s2, s2, s1
	v_rcp_iflag_f32_e32 v5, v3
	s_mul_hi_u32 s2, s1, s2
	s_delay_alu instid0(SALU_CYCLE_1) | instskip(NEXT) | instid1(SALU_CYCLE_1)
	s_add_i32 s1, s1, s2
	s_mul_hi_u32 s1, s28, s1
	s_delay_alu instid0(SALU_CYCLE_1) | instskip(NEXT) | instid1(SALU_CYCLE_1)
	s_mul_i32 s2, s1, s21
	s_sub_i32 s2, s28, s2
	s_add_i32 s28, s1, 1
	s_sub_i32 s29, s2, s21
	s_cmp_ge_u32 s2, s21
	s_cselect_b32 s1, s28, s1
	s_cselect_b32 s2, s29, s2
	s_add_i32 s28, s1, 1
	s_cmp_ge_u32 s2, s21
	s_mov_b32 s2, exec_lo
	s_cselect_b32 s1, s28, s1
	s_delay_alu instid0(SALU_CYCLE_1) | instskip(SKIP_3) | instid1(VALU_DEP_1)
	v_mad_u64_u32 v[3:4], null, s1, s15, v[2:3]
	s_waitcnt_depctr 0xfff
	v_mul_f32_e32 v2, 0x4f7ffffe, v5
	s_mov_b32 s15, 0
	v_cvt_u32_f32_e32 v5, v2
	v_add_nc_u32_e32 v4, s1, v3
	s_delay_alu instid0(VALU_DEP_2) | instskip(NEXT) | instid1(VALU_DEP_2)
	v_readfirstlane_b32 s1, v5
	v_min_i32_e32 v2, s6, v4
	s_delay_alu instid0(VALU_DEP_1)
	v_cmpx_lt_i32_e64 v3, v2
	s_cbranch_execz .LBB11_44
; %bb.27:
	s_sub_i32 s2, 0, s20
	s_mul_i32 s28, s0, s4
	s_mul_i32 s2, s2, s1
	s_add_i32 s21, s7, s20
	s_mul_hi_u32 s2, s1, s2
	s_add_i32 s30, s21, -1
	s_add_i32 s2, s1, s2
	s_sub_i32 s1, s13, s28
	s_add_i32 s21, s0, 1
	s_sub_i32 s28, s1, s4
	s_cmp_ge_u32 s1, s4
	s_mul_hi_u32 s2, s30, s2
	s_cselect_b32 s0, s21, s0
	s_cselect_b32 s1, s28, s1
	s_add_i32 s21, s0, 1
	s_cmp_ge_u32 s1, s4
	v_mul_lo_u32 v5, s11, v9
	s_cselect_b32 s31, s21, s0
	s_mul_i32 s0, s6, s5
	s_mul_i32 s1, s31, s4
	;; [unrolled: 1-line block ×3, first 2 shown]
	s_sub_i32 s4, s13, s1
	s_mul_i32 s11, s3, s10
	s_mul_i32 s0, s0, s4
	;; [unrolled: 1-line block ×3, first 2 shown]
	s_ashr_i32 s1, s0, 31
	v_mul_lo_u32 v6, v5, s3
	s_lshl_b64 s[0:1], s[0:1], 1
	v_mov_b32_e32 v10, 0
	s_add_u32 s4, s24, s0
	s_addc_u32 s13, s25, s1
	s_ashr_i32 s29, s28, 31
	s_mul_i32 s24, s2, s20
	s_lshl_b64 s[0:1], s[28:29], 1
	v_lshlrev_b32_e32 v8, 1, v6
	s_add_u32 s16, s26, s0
	s_addc_u32 s21, s27, s1
	s_sub_i32 s0, s30, s24
	s_add_i32 s1, s2, 1
	s_sub_i32 s24, s0, s20
	s_cmp_ge_u32 s0, s20
	s_cselect_b32 s1, s1, s2
	s_cselect_b32 s0, s24, s0
	s_add_i32 s2, s1, 1
	s_cmp_ge_u32 s0, s20
	s_cselect_b32 s0, s2, s1
	s_abs_i32 s20, s6
	s_mul_i32 s1, s17, s10
	v_cvt_f32_u32_e32 v4, s20
	s_sub_i32 s2, 0, s20
	s_lshl_b32 s10, s7, 3
	s_ashr_i32 s6, s6, 31
	s_lshl_b32 s24, s3, 1
	v_rcp_iflag_f32_e32 v4, v4
	s_waitcnt_depctr 0xfff
	v_mul_f32_e32 v7, 0x4f7ffffe, v4
	v_mad_u64_u32 v[4:5], null, s31, s3, v[0:1]
	v_mad_u64_u32 v[5:6], null, s0, s14, v[1:2]
	s_delay_alu instid0(VALU_DEP_3) | instskip(SKIP_1) | instid1(VALU_DEP_4)
	v_cvt_u32_f32_e32 v9, v7
	v_lshlrev_b32_e32 v0, 1, v0
	v_mul_lo_u32 v6, s17, v4
	s_delay_alu instid0(VALU_DEP_3) | instskip(SKIP_1) | instid1(VALU_DEP_4)
	v_mul_lo_u32 v1, s2, v9
	v_add_nc_u32_e32 v7, s0, v5
	v_add3_u32 v0, v8, s10, v0
	s_lshl_b32 s0, s8, 1
	s_lshl_b32 s2, s7, 2
	;; [unrolled: 1-line block ×3, first 2 shown]
	v_min_i32_e32 v7, s7, v7
	s_add_i32 s0, s0, 0
	v_mul_hi_u32 v1, v9, v1
	s_add_i32 s9, s2, 0
	v_cmp_gt_i32_e32 vcc_lo, s5, v4
	v_add3_u32 v8, s0, s17, v0
	v_cmp_lt_i32_e64 s0, v5, v7
	s_add_i32 s10, s9, s2
	s_delay_alu instid0(SALU_CYCLE_1) | instskip(NEXT) | instid1(VALU_DEP_4)
	s_add_i32 s14, s10, s17
	v_add_nc_u32_e32 v9, v9, v1
	s_mul_i32 s17, s1, s3
	s_branch .LBB11_29
.LBB11_28:                              ;   in Loop: Header=BB11_29 Depth=1
	s_or_b32 exec_lo, exec_lo, s25
	v_add_nc_u32_e32 v3, s22, v3
	s_delay_alu instid0(VALU_DEP_1) | instskip(NEXT) | instid1(VALU_DEP_1)
	v_cmp_ge_i32_e64 s1, v3, v2
	s_or_b32 s15, s1, s15
	s_delay_alu instid0(SALU_CYCLE_1)
	s_and_not1_b32 exec_lo, exec_lo, s15
	s_cbranch_execz .LBB11_44
.LBB11_29:                              ; =>This Loop Header: Depth=1
                                        ;     Child Loop BB11_32 Depth 2
                                        ;       Child Loop BB11_35 Depth 3
                                        ;         Child Loop BB11_38 Depth 4
                                        ;           Child Loop BB11_40 Depth 5
                                        ;       Child Loop BB11_43 Depth 3
	s_and_saveexec_b32 s25, s0
	s_cbranch_execz .LBB11_28
; %bb.30:                               ;   in Loop: Header=BB11_29 Depth=1
	v_mul_lo_u32 v0, v3, s8
	s_mov_b32 s26, 0
	s_delay_alu instid0(VALU_DEP_1) | instskip(SKIP_1) | instid1(VALU_DEP_2)
	v_sub_nc_u32_e32 v11, 0, v0
	v_add3_u32 v1, s23, s8, v0
	v_max_i32_e32 v11, v0, v11
	s_delay_alu instid0(VALU_DEP_2) | instskip(SKIP_1) | instid1(VALU_DEP_3)
	v_sub_nc_u32_e32 v12, 0, v1
	v_ashrrev_i32_e32 v0, 31, v0
	v_mul_hi_u32 v13, v11, v9
	s_delay_alu instid0(VALU_DEP_3) | instskip(SKIP_1) | instid1(VALU_DEP_4)
	v_max_i32_e32 v12, v1, v12
	v_ashrrev_i32_e32 v1, 31, v1
	v_xor_b32_e32 v0, s6, v0
	s_delay_alu instid0(VALU_DEP_3) | instskip(NEXT) | instid1(VALU_DEP_3)
	v_mul_hi_u32 v14, v12, v9
	v_xor_b32_e32 v1, s6, v1
	v_mul_lo_u32 v15, v13, s20
	s_delay_alu instid0(VALU_DEP_3) | instskip(NEXT) | instid1(VALU_DEP_2)
	v_mul_lo_u32 v16, v14, s20
	v_sub_nc_u32_e32 v11, v11, v15
	v_add_nc_u32_e32 v15, 1, v13
	s_delay_alu instid0(VALU_DEP_2) | instskip(NEXT) | instid1(VALU_DEP_4)
	v_cmp_le_u32_e64 s1, s20, v11
	v_sub_nc_u32_e32 v12, v12, v16
	v_add_nc_u32_e32 v16, 1, v14
	s_delay_alu instid0(VALU_DEP_3) | instskip(SKIP_1) | instid1(VALU_DEP_4)
	v_cndmask_b32_e64 v13, v13, v15, s1
	v_subrev_nc_u32_e32 v15, s20, v11
	v_subrev_nc_u32_e32 v17, s20, v12
	v_cmp_le_u32_e64 s2, s20, v12
	s_delay_alu instid0(VALU_DEP_3) | instskip(SKIP_1) | instid1(VALU_DEP_3)
	v_cndmask_b32_e64 v11, v11, v15, s1
	v_add_nc_u32_e32 v15, 1, v13
	v_cndmask_b32_e64 v14, v14, v16, s2
	v_cndmask_b32_e64 v12, v12, v17, s2
	s_delay_alu instid0(VALU_DEP_4) | instskip(NEXT) | instid1(VALU_DEP_3)
	v_cmp_le_u32_e64 s1, s20, v11
	v_add_nc_u32_e32 v16, 1, v14
	s_delay_alu instid0(VALU_DEP_2) | instskip(NEXT) | instid1(VALU_DEP_4)
	v_cndmask_b32_e64 v11, v13, v15, s1
	v_cmp_le_u32_e64 s1, s20, v12
	v_mul_lo_u32 v13, v3, s7
	s_delay_alu instid0(VALU_DEP_3) | instskip(NEXT) | instid1(VALU_DEP_3)
	v_xor_b32_e32 v11, v11, v0
	v_cndmask_b32_e64 v12, v14, v16, s1
	v_mov_b32_e32 v14, v5
	s_delay_alu instid0(VALU_DEP_3) | instskip(NEXT) | instid1(VALU_DEP_3)
	v_sub_nc_u32_e32 v11, v11, v0
	v_xor_b32_e32 v12, v12, v1
	s_delay_alu instid0(VALU_DEP_1) | instskip(NEXT) | instid1(VALU_DEP_1)
	v_sub_nc_u32_e32 v12, v12, v1
	v_cmp_lt_i32_e64 s1, v11, v12
	s_branch .LBB11_32
.LBB11_31:                              ;   in Loop: Header=BB11_32 Depth=2
	s_or_b32 exec_lo, exec_lo, s27
	v_add_nc_u32_e32 v14, s12, v14
	s_delay_alu instid0(VALU_DEP_1) | instskip(NEXT) | instid1(VALU_DEP_1)
	v_cmp_ge_i32_e64 s2, v14, v7
	s_or_b32 s26, s2, s26
	s_delay_alu instid0(SALU_CYCLE_1)
	s_and_not1_b32 exec_lo, exec_lo, s26
	s_cbranch_execz .LBB11_28
.LBB11_32:                              ;   Parent Loop BB11_29 Depth=1
                                        ; =>  This Loop Header: Depth=2
                                        ;       Child Loop BB11_35 Depth 3
                                        ;         Child Loop BB11_38 Depth 4
                                        ;           Child Loop BB11_40 Depth 5
                                        ;       Child Loop BB11_43 Depth 3
	s_delay_alu instid0(VALU_DEP_1)
	s_and_saveexec_b32 s27, s1
	s_cbranch_execz .LBB11_41
; %bb.33:                               ;   in Loop: Header=BB11_32 Depth=2
	v_dual_mov_b32 v17, v11 :: v_dual_lshlrev_b32 v0, 2, v14
	s_mov_b32 s28, 0
	s_delay_alu instid0(VALU_DEP_1)
	v_add_nc_u32_e32 v1, 0, v0
	v_add_nc_u32_e32 v0, s9, v0
	ds_load_b32 v15, v1
	ds_load_b32 v16, v0
	s_waitcnt lgkmcnt(0)
	v_cmp_lt_i32_e64 s2, v15, v16
	s_branch .LBB11_35
.LBB11_34:                              ;   in Loop: Header=BB11_35 Depth=3
	s_or_b32 exec_lo, exec_lo, s29
	v_add_nc_u32_e32 v17, 1, v17
	s_delay_alu instid0(VALU_DEP_1) | instskip(NEXT) | instid1(VALU_DEP_1)
	v_cmp_ge_i32_e64 s3, v17, v12
	s_or_b32 s28, s3, s28
	s_delay_alu instid0(SALU_CYCLE_1)
	s_and_not1_b32 exec_lo, exec_lo, s28
	s_cbranch_execz .LBB11_41
.LBB11_35:                              ;   Parent Loop BB11_29 Depth=1
                                        ;     Parent Loop BB11_32 Depth=2
                                        ; =>    This Loop Header: Depth=3
                                        ;         Child Loop BB11_38 Depth 4
                                        ;           Child Loop BB11_40 Depth 5
	s_delay_alu instid0(VALU_DEP_1)
	s_and_saveexec_b32 s29, s2
	s_cbranch_execz .LBB11_34
; %bb.36:                               ;   in Loop: Header=BB11_35 Depth=3
	v_mul_lo_u32 v0, v17, s18
	v_lshl_add_u32 v18, v17, 1, s14
	v_mov_b32_e32 v21, v15
	s_mov_b32 s30, 0
	s_delay_alu instid0(VALU_DEP_3) | instskip(NEXT) | instid1(VALU_DEP_1)
	v_ashrrev_i32_e32 v1, 31, v0
	v_lshlrev_b64 v[0:1], 1, v[0:1]
	s_delay_alu instid0(VALU_DEP_1) | instskip(NEXT) | instid1(VALU_DEP_1)
	v_add_co_u32 v19, s3, s16, v0
	v_add_co_ci_u32_e64 v20, s3, s21, v1, s3
	s_branch .LBB11_38
.LBB11_37:                              ;   in Loop: Header=BB11_38 Depth=4
	s_or_b32 exec_lo, exec_lo, s31
	v_add_nc_u32_e32 v21, 1, v21
	s_delay_alu instid0(VALU_DEP_1) | instskip(NEXT) | instid1(VALU_DEP_1)
	v_cmp_ge_i32_e64 s3, v21, v16
	s_or_b32 s30, s3, s30
	s_delay_alu instid0(SALU_CYCLE_1)
	s_and_not1_b32 exec_lo, exec_lo, s30
	s_cbranch_execz .LBB11_34
.LBB11_38:                              ;   Parent Loop BB11_29 Depth=1
                                        ;     Parent Loop BB11_32 Depth=2
                                        ;       Parent Loop BB11_35 Depth=3
                                        ; =>      This Loop Header: Depth=4
                                        ;           Child Loop BB11_40 Depth 5
	s_and_saveexec_b32 s31, vcc_lo
	s_cbranch_execz .LBB11_37
; %bb.39:                               ;   in Loop: Header=BB11_38 Depth=4
	v_lshl_add_u32 v0, v21, 1, s10
	s_mov_b32 s33, 0
	ds_load_u16 v0, v0
	ds_load_u16 v1, v18
	s_waitcnt lgkmcnt(1)
	v_lshlrev_b32_e32 v22, 16, v0
	v_mul_lo_u32 v0, v21, s19
	s_waitcnt lgkmcnt(0)
	v_lshlrev_b32_e32 v1, 16, v1
	s_delay_alu instid0(VALU_DEP_1) | instskip(NEXT) | instid1(VALU_DEP_3)
	v_mul_f32_e32 v25, v22, v1
	v_ashrrev_i32_e32 v1, 31, v0
	s_delay_alu instid0(VALU_DEP_2) | instskip(NEXT) | instid1(VALU_DEP_2)
	v_bfe_u32 v22, v25, 16, 1
	v_lshlrev_b64 v[23:24], 1, v[0:1]
	s_delay_alu instid0(VALU_DEP_2) | instskip(SKIP_2) | instid1(VALU_DEP_4)
	v_add3_u32 v26, v25, v22, 0x7fff
	v_mov_b32_e32 v0, v6
	v_mov_b32_e32 v22, v8
	v_add_co_u32 v23, s3, v19, v23
	s_delay_alu instid0(VALU_DEP_4) | instskip(SKIP_3) | instid1(VALU_DEP_1)
	v_and_b32_e32 v1, 0xffff0000, v26
	v_add_co_ci_u32_e64 v24, s3, v20, v24, s3
	v_mov_b32_e32 v26, v4
	v_cmp_o_f32_e64 s3, v25, v25
	v_cndmask_b32_e64 v25, 0x7fc00000, v1, s3
.LBB11_40:                              ;   Parent Loop BB11_29 Depth=1
                                        ;     Parent Loop BB11_32 Depth=2
                                        ;       Parent Loop BB11_35 Depth=3
                                        ;         Parent Loop BB11_38 Depth=4
                                        ; =>        This Inner Loop Header: Depth=5
	v_ashrrev_i32_e32 v1, 31, v0
	s_delay_alu instid0(VALU_DEP_4) | instskip(NEXT) | instid1(VALU_DEP_2)
	v_add_nc_u32_e32 v26, s11, v26
	v_lshlrev_b64 v[27:28], 1, v[0:1]
	v_add_nc_u32_e32 v0, s17, v0
	s_delay_alu instid0(VALU_DEP_2) | instskip(NEXT) | instid1(VALU_DEP_1)
	v_add_co_u32 v27, s3, v23, v27
	v_add_co_ci_u32_e64 v28, s3, v24, v28, s3
	global_load_u16 v1, v[27:28], off
	ds_load_u16 v27, v22
	s_waitcnt lgkmcnt(0)
	v_lshlrev_b32_e32 v27, 16, v27
	s_waitcnt vmcnt(0)
	v_lshlrev_b32_e32 v1, 16, v1
	s_delay_alu instid0(VALU_DEP_1) | instskip(NEXT) | instid1(VALU_DEP_1)
	v_mul_f32_e32 v1, v25, v1
	v_bfe_u32 v28, v1, 16, 1
	s_delay_alu instid0(VALU_DEP_1) | instskip(NEXT) | instid1(VALU_DEP_1)
	v_add3_u32 v28, v1, v28, 0x7fff
	v_and_b32_e32 v28, 0xffff0000, v28
	v_cmp_o_f32_e64 s3, v1, v1
	s_delay_alu instid0(VALU_DEP_1) | instskip(NEXT) | instid1(VALU_DEP_1)
	v_cndmask_b32_e64 v1, 0x7fc00000, v28, s3
	v_add_f32_e32 v1, v1, v27
	s_delay_alu instid0(VALU_DEP_1) | instskip(SKIP_1) | instid1(VALU_DEP_2)
	v_bfe_u32 v27, v1, 16, 1
	v_cmp_o_f32_e64 s3, v1, v1
	v_add3_u32 v27, v1, v27, 0x7fff
	s_delay_alu instid0(VALU_DEP_1) | instskip(NEXT) | instid1(VALU_DEP_1)
	v_lshrrev_b32_e32 v27, 16, v27
	v_cndmask_b32_e64 v1, 0x7fc0, v27, s3
	v_cmp_le_i32_e64 s3, s5, v26
	ds_store_b16 v22, v1
	v_add_nc_u32_e32 v22, s24, v22
	s_or_b32 s33, s3, s33
	s_delay_alu instid0(SALU_CYCLE_1)
	s_and_not1_b32 exec_lo, exec_lo, s33
	s_cbranch_execnz .LBB11_40
	s_branch .LBB11_37
.LBB11_41:                              ;   in Loop: Header=BB11_32 Depth=2
	s_or_b32 exec_lo, exec_lo, s27
	s_and_saveexec_b32 s27, vcc_lo
	s_cbranch_execz .LBB11_31
; %bb.42:                               ;   in Loop: Header=BB11_32 Depth=2
	v_dual_mov_b32 v15, v8 :: v_dual_add_nc_u32 v0, v14, v13
	s_mov_b32 s28, 0
	s_delay_alu instid0(VALU_DEP_1) | instskip(NEXT) | instid1(VALU_DEP_1)
	v_mul_lo_u32 v0, v0, s5
	v_ashrrev_i32_e32 v1, 31, v0
	s_delay_alu instid0(VALU_DEP_1) | instskip(NEXT) | instid1(VALU_DEP_1)
	v_lshlrev_b64 v[0:1], 1, v[0:1]
	v_add_co_u32 v16, s2, s4, v0
	s_delay_alu instid0(VALU_DEP_1)
	v_add_co_ci_u32_e64 v17, s2, s13, v1, s2
	v_mov_b32_e32 v0, v4
	.p2align	6
.LBB11_43:                              ;   Parent Loop BB11_29 Depth=1
                                        ;     Parent Loop BB11_32 Depth=2
                                        ; =>    This Inner Loop Header: Depth=3
	ds_load_u16 v20, v15
	v_ashrrev_i32_e32 v1, 31, v0
	ds_store_b16 v15, v10
	v_add_nc_u32_e32 v15, s24, v15
	v_lshlrev_b64 v[18:19], 1, v[0:1]
	v_add_nc_u32_e32 v0, s11, v0
	s_delay_alu instid0(VALU_DEP_1) | instskip(NEXT) | instid1(VALU_DEP_3)
	v_cmp_le_i32_e64 s2, s5, v0
	v_add_co_u32 v18, s3, v16, v18
	s_delay_alu instid0(VALU_DEP_1) | instskip(NEXT) | instid1(VALU_DEP_3)
	v_add_co_ci_u32_e64 v19, s3, v17, v19, s3
	s_or_b32 s28, s2, s28
	s_waitcnt lgkmcnt(1)
	global_store_b16 v[18:19], v20, off
	s_and_not1_b32 exec_lo, exec_lo, s28
	s_cbranch_execnz .LBB11_43
	s_branch .LBB11_31
.LBB11_44:
	s_nop 0
	s_sendmsg sendmsg(MSG_DEALLOC_VGPRS)
	s_endpgm
	.section	.rodata,"a",@progbits
	.p2align	6, 0x0
	.amdhsa_kernel _ZN2at6native12_GLOBAL__N_131adaptive_average_gradinput_nhwcIiN3c108BFloat16EEEvPT0_PKS5_iiiiiiiiT_S9_S9_S9_
		.amdhsa_group_segment_fixed_size 0
		.amdhsa_private_segment_fixed_size 0
		.amdhsa_kernarg_size 320
		.amdhsa_user_sgpr_count 13
		.amdhsa_user_sgpr_dispatch_ptr 0
		.amdhsa_user_sgpr_queue_ptr 0
		.amdhsa_user_sgpr_kernarg_segment_ptr 1
		.amdhsa_user_sgpr_dispatch_id 0
		.amdhsa_user_sgpr_private_segment_size 0
		.amdhsa_wavefront_size32 1
		.amdhsa_uses_dynamic_stack 0
		.amdhsa_enable_private_segment 0
		.amdhsa_system_sgpr_workgroup_id_x 1
		.amdhsa_system_sgpr_workgroup_id_y 1
		.amdhsa_system_sgpr_workgroup_id_z 1
		.amdhsa_system_sgpr_workgroup_info 0
		.amdhsa_system_vgpr_workitem_id 2
		.amdhsa_next_free_vgpr 35
		.amdhsa_next_free_sgpr 43
		.amdhsa_reserve_vcc 1
		.amdhsa_float_round_mode_32 0
		.amdhsa_float_round_mode_16_64 0
		.amdhsa_float_denorm_mode_32 3
		.amdhsa_float_denorm_mode_16_64 3
		.amdhsa_dx10_clamp 1
		.amdhsa_ieee_mode 1
		.amdhsa_fp16_overflow 0
		.amdhsa_workgroup_processor_mode 1
		.amdhsa_memory_ordered 1
		.amdhsa_forward_progress 0
		.amdhsa_shared_vgpr_count 0
		.amdhsa_exception_fp_ieee_invalid_op 0
		.amdhsa_exception_fp_denorm_src 0
		.amdhsa_exception_fp_ieee_div_zero 0
		.amdhsa_exception_fp_ieee_overflow 0
		.amdhsa_exception_fp_ieee_underflow 0
		.amdhsa_exception_fp_ieee_inexact 0
		.amdhsa_exception_int_div_zero 0
	.end_amdhsa_kernel
	.section	.text._ZN2at6native12_GLOBAL__N_131adaptive_average_gradinput_nhwcIiN3c108BFloat16EEEvPT0_PKS5_iiiiiiiiT_S9_S9_S9_,"axG",@progbits,_ZN2at6native12_GLOBAL__N_131adaptive_average_gradinput_nhwcIiN3c108BFloat16EEEvPT0_PKS5_iiiiiiiiT_S9_S9_S9_,comdat
.Lfunc_end11:
	.size	_ZN2at6native12_GLOBAL__N_131adaptive_average_gradinput_nhwcIiN3c108BFloat16EEEvPT0_PKS5_iiiiiiiiT_S9_S9_S9_, .Lfunc_end11-_ZN2at6native12_GLOBAL__N_131adaptive_average_gradinput_nhwcIiN3c108BFloat16EEEvPT0_PKS5_iiiiiiiiT_S9_S9_S9_
                                        ; -- End function
	.section	.AMDGPU.csdata,"",@progbits
; Kernel info:
; codeLenInByte = 6268
; NumSgprs: 45
; NumVgprs: 35
; ScratchSize: 0
; MemoryBound: 0
; FloatMode: 240
; IeeeMode: 1
; LDSByteSize: 0 bytes/workgroup (compile time only)
; SGPRBlocks: 5
; VGPRBlocks: 4
; NumSGPRsForWavesPerEU: 45
; NumVGPRsForWavesPerEU: 35
; Occupancy: 16
; WaveLimiterHint : 0
; COMPUTE_PGM_RSRC2:SCRATCH_EN: 0
; COMPUTE_PGM_RSRC2:USER_SGPR: 13
; COMPUTE_PGM_RSRC2:TRAP_HANDLER: 0
; COMPUTE_PGM_RSRC2:TGID_X_EN: 1
; COMPUTE_PGM_RSRC2:TGID_Y_EN: 1
; COMPUTE_PGM_RSRC2:TGID_Z_EN: 1
; COMPUTE_PGM_RSRC2:TIDIG_COMP_CNT: 2
	.section	.text._ZN2at6native12_GLOBAL__N_133atomic_adaptive_average_gradinputIdEEvPT_PKS3_iiii,"axG",@progbits,_ZN2at6native12_GLOBAL__N_133atomic_adaptive_average_gradinputIdEEvPT_PKS3_iiii,comdat
	.globl	_ZN2at6native12_GLOBAL__N_133atomic_adaptive_average_gradinputIdEEvPT_PKS3_iiii ; -- Begin function _ZN2at6native12_GLOBAL__N_133atomic_adaptive_average_gradinputIdEEvPT_PKS3_iiii
	.p2align	8
	.type	_ZN2at6native12_GLOBAL__N_133atomic_adaptive_average_gradinputIdEEvPT_PKS3_iiii,@function
_ZN2at6native12_GLOBAL__N_133atomic_adaptive_average_gradinputIdEEvPT_PKS3_iiii: ; @_ZN2at6native12_GLOBAL__N_133atomic_adaptive_average_gradinputIdEEvPT_PKS3_iiii
; %bb.0:
	s_clause 0x1
	s_load_b32 s10, s[0:1], 0x2c
	s_load_b128 s[4:7], s[0:1], 0x10
	v_bfe_u32 v1, v0, 10, 10
	s_add_u32 s8, s0, 32
	s_addc_u32 s9, s1, 0
	s_mov_b32 s2, exec_lo
	s_waitcnt lgkmcnt(0)
	s_lshr_b32 s11, s10, 16
	s_delay_alu instid0(SALU_CYCLE_1) | instskip(NEXT) | instid1(VALU_DEP_1)
	v_mad_u64_u32 v[4:5], null, s15, s11, v[1:2]
	v_cmpx_gt_i32_e64 s6, v4
	s_cbranch_execz .LBB12_22
; %bb.1:
	s_load_b128 s[0:3], s[0:1], 0x0
	s_mul_i32 s12, s14, s6
	s_mul_i32 s14, s14, s4
	;; [unrolled: 1-line block ×4, first 2 shown]
	s_ashr_i32 s13, s12, 31
	s_mov_b32 s18, s6
	s_lshl_b64 s[12:13], s[12:13], 3
	v_cvt_f32_u32_e32 v1, s18
	s_load_b32 s23, s[8:9], 0x4
	v_and_b32_e32 v13, 0x3ff, v0
	s_mov_b32 s8, s5
	s_mov_b32 s27, s7
	v_rcp_iflag_f32_e32 v1, v1
	s_mov_b32 s28, 0
	v_mov_b32_e32 v6, 0
	s_waitcnt lgkmcnt(0)
	s_add_u32 s16, s2, s12
	s_addc_u32 s17, s3, s13
	s_ashr_i32 s15, s14, 31
	s_delay_alu instid0(SALU_CYCLE_1) | instskip(NEXT) | instid1(SALU_CYCLE_1)
	s_lshl_b64 s[2:3], s[14:15], 3
	s_add_u32 s19, s0, s2
	s_addc_u32 s20, s1, s3
	s_abs_i32 s21, s6
	s_abs_i32 s22, s7
	v_cvt_f32_u32_e32 v2, s21
	v_cvt_f32_u32_e32 v3, s22
	s_sub_i32 s0, 0, s6
	s_sub_i32 s1, 0, s21
	;; [unrolled: 1-line block ×3, first 2 shown]
	v_rcp_iflag_f32_e32 v2, v2
	v_rcp_iflag_f32_e32 v3, v3
	v_mul_f32_e32 v1, 0x4f7ffffe, v1
	s_mul_i32 s23, s23, s11
	s_and_b32 s24, s10, 0xffff
	s_ashr_i32 s25, s6, 31
	s_ashr_i32 s9, s5, 31
	;; [unrolled: 1-line block ×3, first 2 shown]
	s_mov_b32 s11, 0
	s_waitcnt_depctr 0xfff
	v_dual_mul_f32 v2, 0x4f7ffffe, v2 :: v_dual_mul_f32 v3, 0x4f7ffffe, v3
	v_cvt_u32_f32_e32 v1, v1
	s_delay_alu instid0(VALU_DEP_2) | instskip(NEXT) | instid1(VALU_DEP_3)
	v_cvt_u32_f32_e32 v2, v2
	v_cvt_u32_f32_e32 v3, v3
	s_delay_alu instid0(VALU_DEP_3) | instskip(SKIP_1) | instid1(VALU_DEP_4)
	v_mul_lo_u32 v5, s0, v1
	v_cmp_gt_i32_e64 s0, s7, v13
	v_mul_lo_u32 v7, s1, v2
	s_delay_alu instid0(VALU_DEP_4) | instskip(NEXT) | instid1(VALU_DEP_4)
	v_mul_lo_u32 v8, s2, v3
	v_mul_hi_u32 v5, v1, v5
	s_delay_alu instid0(VALU_DEP_3) | instskip(NEXT) | instid1(VALU_DEP_3)
	v_mul_hi_u32 v0, v2, v7
	v_mul_hi_u32 v7, v3, v8
	s_delay_alu instid0(VALU_DEP_3) | instskip(NEXT) | instid1(VALU_DEP_3)
	v_add_nc_u32_e32 v16, v1, v5
	v_add_nc_u32_e32 v14, v2, v0
	s_delay_alu instid0(VALU_DEP_3)
	v_add_nc_u32_e32 v15, v3, v7
	s_branch .LBB12_3
.LBB12_2:                               ;   in Loop: Header=BB12_3 Depth=1
	s_or_b32 exec_lo, exec_lo, s29
	v_add_nc_u32_e32 v4, s23, v4
	s_delay_alu instid0(VALU_DEP_1) | instskip(SKIP_1) | instid1(SALU_CYCLE_1)
	v_cmp_le_i32_e32 vcc_lo, s6, v4
	s_or_b32 s28, vcc_lo, s28
	s_and_not1_b32 exec_lo, exec_lo, s28
	s_cbranch_execz .LBB12_22
.LBB12_3:                               ; =>This Loop Header: Depth=1
                                        ;     Child Loop BB12_10 Depth 2
                                        ;       Child Loop BB12_17 Depth 3
                                        ;         Child Loop BB12_19 Depth 4
                                        ;           Child Loop BB12_20 Depth 5
	s_and_saveexec_b32 s29, s0
	s_cbranch_execz .LBB12_2
; %bb.4:                                ;   in Loop: Header=BB12_3 Depth=1
	v_add_nc_u32_e32 v2, 1, v4
	s_delay_alu instid0(VALU_DEP_1) | instskip(SKIP_1) | instid1(VALU_DEP_2)
	v_mad_i64_i32 v[0:1], null, v2, s4, -1
	v_mov_b32_e32 v2, v6
	v_or_b32_e32 v3, s25, v1
	s_delay_alu instid0(VALU_DEP_1) | instskip(SKIP_1) | instid1(SALU_CYCLE_1)
	v_cmp_ne_u64_e32 vcc_lo, 0, v[2:3]
                                        ; implicit-def: $vgpr2_vgpr3
	s_and_saveexec_b32 s1, vcc_lo
	s_xor_b32 s10, exec_lo, s1
	s_cbranch_execz .LBB12_6
; %bb.5:                                ;   in Loop: Header=BB12_3 Depth=1
	s_add_u32 s12, s18, s25
	s_mov_b32 s2, s25
	s_mov_b32 s3, s25
	s_addc_u32 s13, s25, s25
	s_delay_alu instid0(SALU_CYCLE_1) | instskip(NEXT) | instid1(SALU_CYCLE_1)
	s_xor_b64 s[12:13], s[12:13], s[2:3]
	v_cvt_f32_u32_e32 v2, s12
	v_cvt_f32_u32_e32 v3, s13
	s_sub_u32 s1, 0, s12
	s_subb_u32 s3, 0, s13
	s_delay_alu instid0(VALU_DEP_1) | instskip(NEXT) | instid1(VALU_DEP_1)
	v_fmac_f32_e32 v2, 0x4f800000, v3
	v_rcp_f32_e32 v2, v2
	s_waitcnt_depctr 0xfff
	v_mul_f32_e32 v2, 0x5f7ffffc, v2
	s_delay_alu instid0(VALU_DEP_1) | instskip(NEXT) | instid1(VALU_DEP_1)
	v_mul_f32_e32 v3, 0x2f800000, v2
	v_trunc_f32_e32 v3, v3
	s_delay_alu instid0(VALU_DEP_1) | instskip(SKIP_1) | instid1(VALU_DEP_2)
	v_fmac_f32_e32 v2, 0xcf800000, v3
	v_cvt_u32_f32_e32 v3, v3
	v_cvt_u32_f32_e32 v2, v2
	s_delay_alu instid0(VALU_DEP_2) | instskip(NEXT) | instid1(VALU_DEP_2)
	v_mul_lo_u32 v5, s1, v3
	v_mul_hi_u32 v7, s1, v2
	v_mul_lo_u32 v8, s3, v2
	s_delay_alu instid0(VALU_DEP_2) | instskip(SKIP_1) | instid1(VALU_DEP_2)
	v_add_nc_u32_e32 v5, v7, v5
	v_mul_lo_u32 v7, s1, v2
	v_add_nc_u32_e32 v5, v5, v8
	s_delay_alu instid0(VALU_DEP_2) | instskip(NEXT) | instid1(VALU_DEP_2)
	v_mul_hi_u32 v8, v2, v7
	v_mul_lo_u32 v9, v2, v5
	v_mul_hi_u32 v10, v2, v5
	v_mul_hi_u32 v11, v3, v7
	v_mul_lo_u32 v7, v3, v7
	v_mul_hi_u32 v12, v3, v5
	v_mul_lo_u32 v5, v3, v5
	v_add_co_u32 v8, vcc_lo, v8, v9
	v_add_co_ci_u32_e32 v9, vcc_lo, 0, v10, vcc_lo
	s_delay_alu instid0(VALU_DEP_2) | instskip(NEXT) | instid1(VALU_DEP_2)
	v_add_co_u32 v7, vcc_lo, v8, v7
	v_add_co_ci_u32_e32 v7, vcc_lo, v9, v11, vcc_lo
	v_add_co_ci_u32_e32 v8, vcc_lo, 0, v12, vcc_lo
	v_ashrrev_i32_e32 v11, 31, v1
	s_delay_alu instid0(VALU_DEP_3) | instskip(NEXT) | instid1(VALU_DEP_3)
	v_add_co_u32 v5, vcc_lo, v7, v5
	v_add_co_ci_u32_e32 v7, vcc_lo, 0, v8, vcc_lo
	s_delay_alu instid0(VALU_DEP_2) | instskip(NEXT) | instid1(VALU_DEP_2)
	v_add_co_u32 v2, vcc_lo, v2, v5
	v_add_co_ci_u32_e32 v3, vcc_lo, v3, v7, vcc_lo
	s_delay_alu instid0(VALU_DEP_2) | instskip(SKIP_1) | instid1(VALU_DEP_3)
	v_mul_hi_u32 v5, s1, v2
	v_mul_lo_u32 v8, s3, v2
	v_mul_lo_u32 v7, s1, v3
	s_delay_alu instid0(VALU_DEP_1) | instskip(SKIP_1) | instid1(VALU_DEP_2)
	v_add_nc_u32_e32 v5, v5, v7
	v_mul_lo_u32 v7, s1, v2
	v_add_nc_u32_e32 v5, v5, v8
	s_delay_alu instid0(VALU_DEP_2) | instskip(NEXT) | instid1(VALU_DEP_2)
	v_mul_hi_u32 v8, v2, v7
	v_mul_lo_u32 v9, v2, v5
	v_mul_hi_u32 v10, v2, v5
	v_mul_hi_u32 v12, v3, v7
	v_mul_lo_u32 v7, v3, v7
	v_mul_hi_u32 v17, v3, v5
	v_mul_lo_u32 v5, v3, v5
	v_add_co_u32 v8, vcc_lo, v8, v9
	v_add_co_ci_u32_e32 v9, vcc_lo, 0, v10, vcc_lo
	s_delay_alu instid0(VALU_DEP_2) | instskip(NEXT) | instid1(VALU_DEP_2)
	v_add_co_u32 v7, vcc_lo, v8, v7
	v_add_co_ci_u32_e32 v7, vcc_lo, v9, v12, vcc_lo
	v_add_co_ci_u32_e32 v8, vcc_lo, 0, v17, vcc_lo
	v_add_co_u32 v0, vcc_lo, v0, v11
	v_add_co_ci_u32_e32 v1, vcc_lo, v1, v11, vcc_lo
	s_delay_alu instid0(VALU_DEP_4) | instskip(NEXT) | instid1(VALU_DEP_4)
	v_add_co_u32 v5, vcc_lo, v7, v5
	v_add_co_ci_u32_e32 v7, vcc_lo, 0, v8, vcc_lo
	s_delay_alu instid0(VALU_DEP_4) | instskip(NEXT) | instid1(VALU_DEP_3)
	v_xor_b32_e32 v9, v0, v11
	v_add_co_u32 v5, vcc_lo, v2, v5
	s_delay_alu instid0(VALU_DEP_3) | instskip(SKIP_1) | instid1(VALU_DEP_3)
	v_add_co_ci_u32_e32 v10, vcc_lo, v3, v7, vcc_lo
	v_xor_b32_e32 v12, v1, v11
	v_mul_hi_u32 v17, v9, v5
	s_delay_alu instid0(VALU_DEP_3) | instskip(NEXT) | instid1(VALU_DEP_3)
	v_mad_u64_u32 v[0:1], null, v9, v10, 0
	v_mad_u64_u32 v[2:3], null, v12, v5, 0
	;; [unrolled: 1-line block ×3, first 2 shown]
	s_delay_alu instid0(VALU_DEP_3) | instskip(NEXT) | instid1(VALU_DEP_4)
	v_add_co_u32 v0, vcc_lo, v17, v0
	v_add_co_ci_u32_e32 v1, vcc_lo, 0, v1, vcc_lo
	s_delay_alu instid0(VALU_DEP_2) | instskip(NEXT) | instid1(VALU_DEP_2)
	v_add_co_u32 v0, vcc_lo, v0, v2
	v_add_co_ci_u32_e32 v0, vcc_lo, v1, v3, vcc_lo
	v_add_co_ci_u32_e32 v1, vcc_lo, 0, v8, vcc_lo
	s_delay_alu instid0(VALU_DEP_2) | instskip(NEXT) | instid1(VALU_DEP_2)
	v_add_co_u32 v2, vcc_lo, v0, v7
	v_add_co_ci_u32_e32 v3, vcc_lo, 0, v1, vcc_lo
	s_delay_alu instid0(VALU_DEP_2) | instskip(SKIP_1) | instid1(VALU_DEP_3)
	v_mul_lo_u32 v5, s13, v2
	v_mad_u64_u32 v[0:1], null, s12, v2, 0
	v_mul_lo_u32 v3, s12, v3
	s_delay_alu instid0(VALU_DEP_2) | instskip(NEXT) | instid1(VALU_DEP_2)
	v_sub_co_u32 v0, vcc_lo, v9, v0
	v_add3_u32 v1, v1, v3, v5
	v_add_co_u32 v5, s1, v2, 2
	s_delay_alu instid0(VALU_DEP_2) | instskip(NEXT) | instid1(VALU_DEP_1)
	v_sub_nc_u32_e32 v3, v12, v1
	v_subrev_co_ci_u32_e64 v3, s1, s13, v3, vcc_lo
	v_sub_co_u32 v7, s1, v0, s12
	v_sub_co_ci_u32_e32 v1, vcc_lo, v12, v1, vcc_lo
	s_delay_alu instid0(VALU_DEP_3) | instskip(NEXT) | instid1(VALU_DEP_3)
	v_subrev_co_ci_u32_e64 v3, s1, 0, v3, s1
	v_cmp_le_u32_e32 vcc_lo, s12, v7
	v_cndmask_b32_e64 v7, 0, -1, vcc_lo
	s_delay_alu instid0(VALU_DEP_3)
	v_cmp_le_u32_e32 vcc_lo, s13, v3
	v_cndmask_b32_e64 v8, 0, -1, vcc_lo
	v_cmp_le_u32_e32 vcc_lo, s12, v0
	v_cndmask_b32_e64 v0, 0, -1, vcc_lo
	v_cmp_le_u32_e32 vcc_lo, s13, v1
	v_cndmask_b32_e64 v9, 0, -1, vcc_lo
	v_cmp_eq_u32_e32 vcc_lo, s13, v3
	v_cndmask_b32_e32 v3, v8, v7, vcc_lo
	v_add_co_u32 v7, vcc_lo, v2, 1
	v_cmp_eq_u32_e32 vcc_lo, s13, v1
	v_cndmask_b32_e32 v0, v9, v0, vcc_lo
	s_delay_alu instid0(VALU_DEP_4) | instskip(NEXT) | instid1(VALU_DEP_4)
	v_cmp_ne_u32_e32 vcc_lo, 0, v3
	v_cndmask_b32_e32 v1, v7, v5, vcc_lo
	s_delay_alu instid0(VALU_DEP_3) | instskip(NEXT) | instid1(VALU_DEP_2)
	v_cmp_ne_u32_e32 vcc_lo, 0, v0
	v_cndmask_b32_e32 v0, v2, v1, vcc_lo
	v_xor_b32_e32 v1, s2, v11
	s_delay_alu instid0(VALU_DEP_1) | instskip(NEXT) | instid1(VALU_DEP_1)
	v_xor_b32_e32 v0, v0, v1
	v_sub_co_u32 v2, vcc_lo, v0, v1
                                        ; implicit-def: $vgpr0_vgpr1
.LBB12_6:                               ;   in Loop: Header=BB12_3 Depth=1
	s_and_not1_saveexec_b32 s1, s10
; %bb.7:                                ;   in Loop: Header=BB12_3 Depth=1
	v_mul_hi_u32 v1, v0, v16
	s_delay_alu instid0(VALU_DEP_1) | instskip(NEXT) | instid1(VALU_DEP_1)
	v_mul_lo_u32 v2, v1, s18
	v_sub_nc_u32_e32 v0, v0, v2
	v_add_nc_u32_e32 v2, 1, v1
	s_delay_alu instid0(VALU_DEP_2) | instskip(SKIP_1) | instid1(VALU_DEP_2)
	v_subrev_nc_u32_e32 v3, s18, v0
	v_cmp_le_u32_e32 vcc_lo, s18, v0
	v_dual_cndmask_b32 v0, v0, v3 :: v_dual_cndmask_b32 v1, v1, v2
	s_delay_alu instid0(VALU_DEP_1) | instskip(NEXT) | instid1(VALU_DEP_2)
	v_cmp_le_u32_e32 vcc_lo, s18, v0
	v_add_nc_u32_e32 v2, 1, v1
	s_delay_alu instid0(VALU_DEP_1)
	v_cndmask_b32_e32 v2, v1, v2, vcc_lo
; %bb.8:                                ;   in Loop: Header=BB12_3 Depth=1
	s_or_b32 exec_lo, exec_lo, s1
	v_sub_nc_u32_e32 v0, 0, v4
	s_mov_b32 s30, 0
	s_delay_alu instid0(VALU_DEP_1) | instskip(NEXT) | instid1(VALU_DEP_1)
	v_max_i32_e32 v0, v4, v0
	v_mul_hi_u32 v1, v0, v14
	s_delay_alu instid0(VALU_DEP_1) | instskip(NEXT) | instid1(VALU_DEP_1)
	v_mul_lo_u32 v3, v1, s21
	v_sub_nc_u32_e32 v0, v0, v3
	v_add_nc_u32_e32 v3, 1, v1
	s_delay_alu instid0(VALU_DEP_2) | instskip(SKIP_1) | instid1(VALU_DEP_2)
	v_subrev_nc_u32_e32 v5, s21, v0
	v_cmp_le_u32_e32 vcc_lo, s21, v0
	v_dual_cndmask_b32 v1, v1, v3 :: v_dual_cndmask_b32 v0, v0, v5
	v_ashrrev_i32_e32 v3, 31, v4
	s_delay_alu instid0(VALU_DEP_2) | instskip(NEXT) | instid1(VALU_DEP_3)
	v_add_nc_u32_e32 v5, 1, v1
	v_cmp_le_u32_e32 vcc_lo, s21, v0
	s_delay_alu instid0(VALU_DEP_3) | instskip(NEXT) | instid1(VALU_DEP_3)
	v_xor_b32_e32 v3, s25, v3
	v_cndmask_b32_e32 v0, v1, v5, vcc_lo
	s_delay_alu instid0(VALU_DEP_1) | instskip(NEXT) | instid1(VALU_DEP_1)
	v_xor_b32_e32 v0, v0, v3
	v_sub_nc_u32_e32 v1, v0, v3
	s_delay_alu instid0(VALU_DEP_1) | instskip(NEXT) | instid1(VALU_DEP_1)
	v_mul_lo_u32 v0, v1, s6
	v_sub_nc_u32_e32 v0, v4, v0
	s_delay_alu instid0(VALU_DEP_1) | instskip(NEXT) | instid1(VALU_DEP_1)
	v_mul_lo_u32 v0, v0, s4
	v_sub_nc_u32_e32 v3, 0, v0
	s_delay_alu instid0(VALU_DEP_1) | instskip(SKIP_1) | instid1(VALU_DEP_2)
	v_max_i32_e32 v3, v0, v3
	v_ashrrev_i32_e32 v0, 31, v0
	v_mul_hi_u32 v5, v3, v14
	s_delay_alu instid0(VALU_DEP_2) | instskip(NEXT) | instid1(VALU_DEP_2)
	v_xor_b32_e32 v0, s25, v0
	v_mul_lo_u32 v7, v5, s21
	s_delay_alu instid0(VALU_DEP_1) | instskip(SKIP_1) | instid1(VALU_DEP_2)
	v_sub_nc_u32_e32 v3, v3, v7
	v_add_nc_u32_e32 v7, 1, v5
	v_subrev_nc_u32_e32 v8, s21, v3
	v_cmp_le_u32_e32 vcc_lo, s21, v3
	s_delay_alu instid0(VALU_DEP_2) | instskip(NEXT) | instid1(VALU_DEP_4)
	v_cndmask_b32_e32 v3, v3, v8, vcc_lo
	v_cndmask_b32_e32 v5, v5, v7, vcc_lo
	s_delay_alu instid0(VALU_DEP_2) | instskip(NEXT) | instid1(VALU_DEP_2)
	v_cmp_le_u32_e32 vcc_lo, s21, v3
	v_add_nc_u32_e32 v7, 1, v5
	s_delay_alu instid0(VALU_DEP_1) | instskip(NEXT) | instid1(VALU_DEP_1)
	v_cndmask_b32_e32 v3, v5, v7, vcc_lo
	v_xor_b32_e32 v3, v3, v0
	s_delay_alu instid0(VALU_DEP_1) | instskip(NEXT) | instid1(VALU_DEP_1)
	v_sub_nc_u32_e32 v0, v3, v0
	v_mad_u64_u32 v[9:10], null, v1, s4, v[0:1]
	s_delay_alu instid0(VALU_DEP_1) | instskip(SKIP_2) | instid1(VALU_DEP_3)
	v_sub_nc_u32_e32 v5, v2, v9
	v_mul_lo_u32 v0, v9, s5
	v_mul_lo_u32 v2, v4, s7
	v_add_nc_u32_e32 v10, 1, v5
	v_cmp_gt_u32_e64 s1, 0x7fffffff, v5
	v_mov_b32_e32 v5, v13
	v_ashrrev_i32_e32 v1, 31, v0
	s_delay_alu instid0(VALU_DEP_4) | instskip(SKIP_2) | instid1(VALU_DEP_4)
	v_cvt_f64_i32_e32 v[7:8], v10
	v_ashrrev_i32_e32 v3, 31, v2
	v_max_i32_e32 v21, 1, v10
	v_lshlrev_b64 v[0:1], 3, v[0:1]
	s_delay_alu instid0(VALU_DEP_3) | instskip(NEXT) | instid1(VALU_DEP_2)
	v_lshlrev_b64 v[2:3], 3, v[2:3]
	v_add_co_u32 v17, vcc_lo, s19, v0
	s_delay_alu instid0(VALU_DEP_3) | instskip(NEXT) | instid1(VALU_DEP_3)
	v_add_co_ci_u32_e32 v18, vcc_lo, s20, v1, vcc_lo
	v_add_co_u32 v19, vcc_lo, s16, v2
	s_delay_alu instid0(VALU_DEP_4)
	v_add_co_ci_u32_e32 v20, vcc_lo, s17, v3, vcc_lo
	s_branch .LBB12_10
.LBB12_9:                               ;   in Loop: Header=BB12_10 Depth=2
	s_set_inst_prefetch_distance 0x2
	s_or_b32 exec_lo, exec_lo, s12
	v_add_nc_u32_e32 v5, s24, v5
	s_delay_alu instid0(VALU_DEP_1) | instskip(SKIP_1) | instid1(SALU_CYCLE_1)
	v_cmp_le_i32_e32 vcc_lo, s7, v5
	s_or_b32 s30, vcc_lo, s30
	s_and_not1_b32 exec_lo, exec_lo, s30
	s_cbranch_execz .LBB12_2
.LBB12_10:                              ;   Parent Loop BB12_3 Depth=1
                                        ; =>  This Loop Header: Depth=2
                                        ;       Child Loop BB12_17 Depth 3
                                        ;         Child Loop BB12_19 Depth 4
                                        ;           Child Loop BB12_20 Depth 5
	v_add_nc_u32_e32 v9, 1, v5
	s_delay_alu instid0(VALU_DEP_1) | instskip(NEXT) | instid1(VALU_DEP_1)
	v_mad_u64_u32 v[0:1], null, v9, s8, -1
	v_mad_u64_u32 v[2:3], null, v9, s9, v[1:2]
	s_delay_alu instid0(VALU_DEP_1) | instskip(SKIP_1) | instid1(VALU_DEP_2)
	v_mov_b32_e32 v1, v2
	v_mov_b32_e32 v2, v6
	v_or_b32_e32 v3, s26, v1
	s_delay_alu instid0(VALU_DEP_1) | instskip(SKIP_1) | instid1(SALU_CYCLE_1)
	v_cmp_ne_u64_e32 vcc_lo, 0, v[2:3]
                                        ; implicit-def: $vgpr2_vgpr3
	s_and_saveexec_b32 s2, vcc_lo
	s_xor_b32 s3, exec_lo, s2
	s_cbranch_execnz .LBB12_13
; %bb.11:                               ;   in Loop: Header=BB12_10 Depth=2
	s_and_not1_saveexec_b32 s2, s3
	s_cbranch_execnz .LBB12_14
.LBB12_12:                              ;   in Loop: Header=BB12_10 Depth=2
	s_or_b32 exec_lo, exec_lo, s2
	s_and_saveexec_b32 s12, s1
	s_cbranch_execz .LBB12_9
	s_branch .LBB12_15
.LBB12_13:                              ;   in Loop: Header=BB12_10 Depth=2
	s_add_u32 s14, s27, s26
	s_mov_b32 s12, s26
	s_mov_b32 s13, s26
	s_addc_u32 s15, s26, s26
	s_delay_alu instid0(SALU_CYCLE_1) | instskip(NEXT) | instid1(SALU_CYCLE_1)
	s_xor_b64 s[14:15], s[14:15], s[12:13]
	v_cvt_f32_u32_e32 v2, s14
	v_cvt_f32_u32_e32 v3, s15
	s_sub_u32 s2, 0, s14
	s_subb_u32 s10, 0, s15
	s_delay_alu instid0(VALU_DEP_1) | instskip(NEXT) | instid1(VALU_DEP_1)
	v_fmac_f32_e32 v2, 0x4f800000, v3
	v_rcp_f32_e32 v2, v2
	s_waitcnt_depctr 0xfff
	v_mul_f32_e32 v2, 0x5f7ffffc, v2
	s_delay_alu instid0(VALU_DEP_1) | instskip(NEXT) | instid1(VALU_DEP_1)
	v_mul_f32_e32 v3, 0x2f800000, v2
	v_trunc_f32_e32 v3, v3
	s_delay_alu instid0(VALU_DEP_1) | instskip(SKIP_1) | instid1(VALU_DEP_2)
	v_fmac_f32_e32 v2, 0xcf800000, v3
	v_cvt_u32_f32_e32 v3, v3
	v_cvt_u32_f32_e32 v2, v2
	s_delay_alu instid0(VALU_DEP_2) | instskip(NEXT) | instid1(VALU_DEP_2)
	v_mul_lo_u32 v9, s2, v3
	v_mul_hi_u32 v10, s2, v2
	v_mul_lo_u32 v11, s10, v2
	s_delay_alu instid0(VALU_DEP_2) | instskip(SKIP_1) | instid1(VALU_DEP_2)
	v_add_nc_u32_e32 v9, v10, v9
	v_mul_lo_u32 v10, s2, v2
	v_add_nc_u32_e32 v9, v9, v11
	s_delay_alu instid0(VALU_DEP_2) | instskip(NEXT) | instid1(VALU_DEP_2)
	v_mul_hi_u32 v11, v2, v10
	v_mul_lo_u32 v12, v2, v9
	v_mul_hi_u32 v22, v2, v9
	v_mul_hi_u32 v23, v3, v10
	v_mul_lo_u32 v10, v3, v10
	v_mul_hi_u32 v24, v3, v9
	v_mul_lo_u32 v9, v3, v9
	v_add_co_u32 v11, vcc_lo, v11, v12
	v_add_co_ci_u32_e32 v12, vcc_lo, 0, v22, vcc_lo
	s_delay_alu instid0(VALU_DEP_2) | instskip(NEXT) | instid1(VALU_DEP_2)
	v_add_co_u32 v10, vcc_lo, v11, v10
	v_add_co_ci_u32_e32 v10, vcc_lo, v12, v23, vcc_lo
	v_add_co_ci_u32_e32 v11, vcc_lo, 0, v24, vcc_lo
	v_ashrrev_i32_e32 v23, 31, v1
	s_delay_alu instid0(VALU_DEP_3) | instskip(NEXT) | instid1(VALU_DEP_3)
	v_add_co_u32 v9, vcc_lo, v10, v9
	v_add_co_ci_u32_e32 v10, vcc_lo, 0, v11, vcc_lo
	s_delay_alu instid0(VALU_DEP_2) | instskip(NEXT) | instid1(VALU_DEP_2)
	v_add_co_u32 v2, vcc_lo, v2, v9
	v_add_co_ci_u32_e32 v3, vcc_lo, v3, v10, vcc_lo
	s_delay_alu instid0(VALU_DEP_2) | instskip(SKIP_1) | instid1(VALU_DEP_3)
	v_mul_hi_u32 v9, s2, v2
	v_mul_lo_u32 v11, s10, v2
	v_mul_lo_u32 v10, s2, v3
	s_delay_alu instid0(VALU_DEP_1) | instskip(SKIP_1) | instid1(VALU_DEP_2)
	v_add_nc_u32_e32 v9, v9, v10
	v_mul_lo_u32 v10, s2, v2
	v_add_nc_u32_e32 v9, v9, v11
	s_delay_alu instid0(VALU_DEP_2) | instskip(NEXT) | instid1(VALU_DEP_2)
	v_mul_hi_u32 v11, v2, v10
	v_mul_lo_u32 v12, v2, v9
	v_mul_hi_u32 v22, v2, v9
	v_mul_hi_u32 v24, v3, v10
	v_mul_lo_u32 v10, v3, v10
	v_mul_hi_u32 v25, v3, v9
	v_mul_lo_u32 v9, v3, v9
	v_add_co_u32 v11, vcc_lo, v11, v12
	v_add_co_ci_u32_e32 v12, vcc_lo, 0, v22, vcc_lo
	s_delay_alu instid0(VALU_DEP_2) | instskip(NEXT) | instid1(VALU_DEP_2)
	v_add_co_u32 v10, vcc_lo, v11, v10
	v_add_co_ci_u32_e32 v10, vcc_lo, v12, v24, vcc_lo
	v_add_co_ci_u32_e32 v11, vcc_lo, 0, v25, vcc_lo
	v_add_co_u32 v0, vcc_lo, v0, v23
	v_add_co_ci_u32_e32 v1, vcc_lo, v1, v23, vcc_lo
	s_delay_alu instid0(VALU_DEP_4) | instskip(NEXT) | instid1(VALU_DEP_4)
	v_add_co_u32 v9, vcc_lo, v10, v9
	v_add_co_ci_u32_e32 v10, vcc_lo, 0, v11, vcc_lo
	s_delay_alu instid0(VALU_DEP_4) | instskip(NEXT) | instid1(VALU_DEP_3)
	v_xor_b32_e32 v11, v0, v23
	v_add_co_u32 v9, vcc_lo, v2, v9
	s_delay_alu instid0(VALU_DEP_3) | instskip(SKIP_1) | instid1(VALU_DEP_3)
	v_add_co_ci_u32_e32 v12, vcc_lo, v3, v10, vcc_lo
	v_xor_b32_e32 v22, v1, v23
	v_mul_hi_u32 v24, v11, v9
	s_delay_alu instid0(VALU_DEP_3) | instskip(NEXT) | instid1(VALU_DEP_3)
	v_mad_u64_u32 v[0:1], null, v11, v12, 0
	v_mad_u64_u32 v[2:3], null, v22, v9, 0
	;; [unrolled: 1-line block ×3, first 2 shown]
	s_delay_alu instid0(VALU_DEP_3) | instskip(NEXT) | instid1(VALU_DEP_4)
	v_add_co_u32 v0, vcc_lo, v24, v0
	v_add_co_ci_u32_e32 v1, vcc_lo, 0, v1, vcc_lo
	s_delay_alu instid0(VALU_DEP_2) | instskip(NEXT) | instid1(VALU_DEP_2)
	v_add_co_u32 v0, vcc_lo, v0, v2
	v_add_co_ci_u32_e32 v0, vcc_lo, v1, v3, vcc_lo
	v_add_co_ci_u32_e32 v1, vcc_lo, 0, v10, vcc_lo
	s_delay_alu instid0(VALU_DEP_2) | instskip(NEXT) | instid1(VALU_DEP_2)
	v_add_co_u32 v2, vcc_lo, v0, v9
	v_add_co_ci_u32_e32 v3, vcc_lo, 0, v1, vcc_lo
	s_delay_alu instid0(VALU_DEP_2) | instskip(SKIP_1) | instid1(VALU_DEP_3)
	v_mul_lo_u32 v9, s15, v2
	v_mad_u64_u32 v[0:1], null, s14, v2, 0
	v_mul_lo_u32 v3, s14, v3
	s_delay_alu instid0(VALU_DEP_2) | instskip(NEXT) | instid1(VALU_DEP_2)
	v_sub_co_u32 v0, vcc_lo, v11, v0
	v_add3_u32 v1, v1, v3, v9
	v_add_co_u32 v9, s2, v2, 2
	s_delay_alu instid0(VALU_DEP_2) | instskip(NEXT) | instid1(VALU_DEP_1)
	v_sub_nc_u32_e32 v3, v22, v1
	v_subrev_co_ci_u32_e64 v3, s2, s15, v3, vcc_lo
	v_sub_co_u32 v10, s2, v0, s14
	v_sub_co_ci_u32_e32 v1, vcc_lo, v22, v1, vcc_lo
	s_delay_alu instid0(VALU_DEP_3) | instskip(NEXT) | instid1(VALU_DEP_3)
	v_subrev_co_ci_u32_e64 v3, s2, 0, v3, s2
	v_cmp_le_u32_e32 vcc_lo, s14, v10
	v_cndmask_b32_e64 v10, 0, -1, vcc_lo
	s_delay_alu instid0(VALU_DEP_3)
	v_cmp_le_u32_e32 vcc_lo, s15, v3
	v_cndmask_b32_e64 v11, 0, -1, vcc_lo
	v_cmp_le_u32_e32 vcc_lo, s14, v0
	v_cndmask_b32_e64 v0, 0, -1, vcc_lo
	;; [unrolled: 2-line block ×3, first 2 shown]
	v_cmp_eq_u32_e32 vcc_lo, s15, v3
	v_cndmask_b32_e32 v3, v11, v10, vcc_lo
	v_add_co_u32 v10, vcc_lo, v2, 1
	v_cmp_eq_u32_e32 vcc_lo, s15, v1
	v_cndmask_b32_e32 v0, v12, v0, vcc_lo
	s_delay_alu instid0(VALU_DEP_4) | instskip(NEXT) | instid1(VALU_DEP_4)
	v_cmp_ne_u32_e32 vcc_lo, 0, v3
	v_cndmask_b32_e32 v1, v10, v9, vcc_lo
	s_delay_alu instid0(VALU_DEP_3) | instskip(NEXT) | instid1(VALU_DEP_2)
	v_cmp_ne_u32_e32 vcc_lo, 0, v0
	v_cndmask_b32_e32 v0, v2, v1, vcc_lo
	v_xor_b32_e32 v1, s12, v23
	s_delay_alu instid0(VALU_DEP_1) | instskip(NEXT) | instid1(VALU_DEP_1)
	v_xor_b32_e32 v0, v0, v1
	v_sub_co_u32 v2, vcc_lo, v0, v1
                                        ; implicit-def: $vgpr0_vgpr1
	s_and_not1_saveexec_b32 s2, s3
	s_cbranch_execz .LBB12_12
.LBB12_14:                              ;   in Loop: Header=BB12_10 Depth=2
	v_cvt_f32_u32_e32 v1, s27
	s_sub_i32 s3, 0, s27
	s_delay_alu instid0(VALU_DEP_1) | instskip(SKIP_2) | instid1(VALU_DEP_1)
	v_rcp_iflag_f32_e32 v1, v1
	s_waitcnt_depctr 0xfff
	v_mul_f32_e32 v1, 0x4f7ffffe, v1
	v_cvt_u32_f32_e32 v1, v1
	s_delay_alu instid0(VALU_DEP_1) | instskip(NEXT) | instid1(VALU_DEP_1)
	v_mul_lo_u32 v2, s3, v1
	v_mul_hi_u32 v2, v1, v2
	s_delay_alu instid0(VALU_DEP_1) | instskip(NEXT) | instid1(VALU_DEP_1)
	v_add_nc_u32_e32 v1, v1, v2
	v_mul_hi_u32 v1, v0, v1
	s_delay_alu instid0(VALU_DEP_1) | instskip(NEXT) | instid1(VALU_DEP_1)
	v_mul_lo_u32 v2, v1, s27
	v_sub_nc_u32_e32 v0, v0, v2
	v_add_nc_u32_e32 v2, 1, v1
	s_delay_alu instid0(VALU_DEP_2) | instskip(SKIP_1) | instid1(VALU_DEP_2)
	v_subrev_nc_u32_e32 v3, s27, v0
	v_cmp_le_u32_e32 vcc_lo, s27, v0
	v_dual_cndmask_b32 v0, v0, v3 :: v_dual_cndmask_b32 v1, v1, v2
	s_delay_alu instid0(VALU_DEP_1) | instskip(NEXT) | instid1(VALU_DEP_2)
	v_cmp_le_u32_e32 vcc_lo, s27, v0
	v_add_nc_u32_e32 v2, 1, v1
	s_delay_alu instid0(VALU_DEP_1)
	v_cndmask_b32_e32 v2, v1, v2, vcc_lo
	s_or_b32 exec_lo, exec_lo, s2
	s_and_saveexec_b32 s12, s1
	s_cbranch_execz .LBB12_9
.LBB12_15:                              ;   in Loop: Header=BB12_10 Depth=2
	v_lshlrev_b64 v[0:1], 3, v[5:6]
	v_mul_lo_u32 v3, v5, s5
	v_mul_hi_u32 v10, v5, v15
	s_mov_b32 s13, 0
	s_mov_b32 s14, 0
	s_delay_alu instid0(VALU_DEP_3) | instskip(SKIP_1) | instid1(VALU_DEP_4)
	v_add_co_u32 v0, vcc_lo, v19, v0
	v_add_co_ci_u32_e32 v1, vcc_lo, v20, v1, vcc_lo
	v_sub_nc_u32_e32 v9, 0, v3
	s_delay_alu instid0(VALU_DEP_4)
	v_mul_lo_u32 v12, v10, s22
	v_add_nc_u32_e32 v23, 1, v10
	global_load_b64 v[0:1], v[0:1], off
	v_max_i32_e32 v9, v3, v9
	v_ashrrev_i32_e32 v3, 31, v3
	v_sub_nc_u32_e32 v12, v5, v12
	s_delay_alu instid0(VALU_DEP_3) | instskip(NEXT) | instid1(VALU_DEP_3)
	v_mul_hi_u32 v11, v9, v15
	v_xor_b32_e32 v3, s26, v3
	s_delay_alu instid0(VALU_DEP_3) | instskip(NEXT) | instid1(VALU_DEP_3)
	v_cmp_le_u32_e32 vcc_lo, s22, v12
	v_mul_lo_u32 v22, v11, s22
	v_cndmask_b32_e32 v10, v10, v23, vcc_lo
	v_subrev_nc_u32_e32 v23, s22, v12
	s_delay_alu instid0(VALU_DEP_1) | instskip(NEXT) | instid1(VALU_DEP_4)
	v_cndmask_b32_e32 v12, v12, v23, vcc_lo
	v_sub_nc_u32_e32 v9, v9, v22
	v_add_nc_u32_e32 v22, 1, v11
	s_delay_alu instid0(VALU_DEP_3) | instskip(NEXT) | instid1(VALU_DEP_3)
	v_cmp_le_u32_e32 vcc_lo, s22, v12
	v_cmp_le_u32_e64 s2, s22, v9
	v_subrev_nc_u32_e32 v24, s22, v9
	s_delay_alu instid0(VALU_DEP_2) | instskip(NEXT) | instid1(VALU_DEP_2)
	v_cndmask_b32_e64 v11, v11, v22, s2
	v_cndmask_b32_e64 v9, v9, v24, s2
	s_delay_alu instid0(VALU_DEP_2) | instskip(SKIP_1) | instid1(VALU_DEP_1)
	v_add_nc_u32_e32 v23, 1, v11
	v_add_nc_u32_e32 v22, 1, v10
	v_cndmask_b32_e32 v10, v10, v22, vcc_lo
	s_delay_alu instid0(VALU_DEP_4) | instskip(NEXT) | instid1(VALU_DEP_2)
	v_cmp_le_u32_e32 vcc_lo, s22, v9
	v_xor_b32_e32 v10, s26, v10
	v_cndmask_b32_e32 v9, v11, v23, vcc_lo
	s_delay_alu instid0(VALU_DEP_2) | instskip(NEXT) | instid1(VALU_DEP_2)
	v_subrev_nc_u32_e32 v10, s26, v10
	v_xor_b32_e32 v9, v9, v3
	s_delay_alu instid0(VALU_DEP_1) | instskip(NEXT) | instid1(VALU_DEP_1)
	v_sub_nc_u32_e32 v3, v9, v3
	v_mad_u64_u32 v[11:12], null, v10, s5, v[3:4]
	s_delay_alu instid0(VALU_DEP_1) | instskip(SKIP_1) | instid1(VALU_DEP_2)
	v_sub_nc_u32_e32 v28, v2, v11
	v_ashrrev_i32_e32 v12, 31, v11
	v_add_nc_u32_e32 v29, 1, v28
	s_delay_alu instid0(VALU_DEP_1) | instskip(SKIP_1) | instid1(VALU_DEP_1)
	v_cvt_f64_i32_e32 v[2:3], v29
	s_waitcnt vmcnt(0)
	v_div_scale_f64 v[9:10], null, v[2:3], v[2:3], v[0:1]
	v_div_scale_f64 v[26:27], vcc_lo, v[0:1], v[2:3], v[0:1]
	s_delay_alu instid0(VALU_DEP_2) | instskip(SKIP_2) | instid1(VALU_DEP_1)
	v_rcp_f64_e32 v[22:23], v[9:10]
	s_waitcnt_depctr 0xfff
	v_fma_f64 v[24:25], -v[9:10], v[22:23], 1.0
	v_fma_f64 v[22:23], v[22:23], v[24:25], v[22:23]
	s_delay_alu instid0(VALU_DEP_1) | instskip(NEXT) | instid1(VALU_DEP_1)
	v_fma_f64 v[24:25], -v[9:10], v[22:23], 1.0
	v_fma_f64 v[22:23], v[22:23], v[24:25], v[22:23]
	s_delay_alu instid0(VALU_DEP_1) | instskip(NEXT) | instid1(VALU_DEP_1)
	v_mul_f64 v[24:25], v[26:27], v[22:23]
	v_fma_f64 v[9:10], -v[9:10], v[24:25], v[26:27]
	s_delay_alu instid0(VALU_DEP_1) | instskip(NEXT) | instid1(VALU_DEP_1)
	v_div_fmas_f64 v[9:10], v[9:10], v[22:23], v[24:25]
	v_div_fixup_f64 v[0:1], v[9:10], v[2:3], v[0:1]
	s_delay_alu instid0(VALU_DEP_1) | instskip(NEXT) | instid1(VALU_DEP_1)
	v_div_scale_f64 v[2:3], null, v[7:8], v[7:8], v[0:1]
	v_rcp_f64_e32 v[9:10], v[2:3]
	s_waitcnt_depctr 0xfff
	v_fma_f64 v[22:23], -v[2:3], v[9:10], 1.0
	s_delay_alu instid0(VALU_DEP_1) | instskip(NEXT) | instid1(VALU_DEP_1)
	v_fma_f64 v[9:10], v[9:10], v[22:23], v[9:10]
	v_fma_f64 v[22:23], -v[2:3], v[9:10], 1.0
	s_delay_alu instid0(VALU_DEP_1) | instskip(SKIP_1) | instid1(VALU_DEP_1)
	v_fma_f64 v[9:10], v[9:10], v[22:23], v[9:10]
	v_div_scale_f64 v[22:23], vcc_lo, v[0:1], v[7:8], v[0:1]
	v_mul_f64 v[24:25], v[22:23], v[9:10]
	s_delay_alu instid0(VALU_DEP_1) | instskip(NEXT) | instid1(VALU_DEP_1)
	v_fma_f64 v[2:3], -v[2:3], v[24:25], v[22:23]
	v_div_fmas_f64 v[2:3], v[2:3], v[9:10], v[24:25]
	v_max_i32_e32 v24, 1, v29
	s_delay_alu instid0(VALU_DEP_2) | instskip(SKIP_1) | instid1(VALU_DEP_1)
	v_div_fixup_f64 v[9:10], v[2:3], v[7:8], v[0:1]
	v_lshlrev_b64 v[0:1], 3, v[11:12]
	v_add_co_u32 v22, vcc_lo, v17, v0
	s_delay_alu instid0(VALU_DEP_2)
	v_add_co_ci_u32_e32 v23, vcc_lo, v18, v1, vcc_lo
	v_cmp_gt_u32_e32 vcc_lo, 0x7fffffff, v28
	s_set_inst_prefetch_distance 0x1
	s_branch .LBB12_17
	.p2align	6
.LBB12_16:                              ;   in Loop: Header=BB12_17 Depth=3
	s_or_b32 exec_lo, exec_lo, s3
	s_add_i32 s14, s14, 1
	s_lshl_b64 s[34:35], s[8:9], 3
	v_cmp_eq_u32_e64 s2, s14, v21
	v_add_co_u32 v22, s3, v22, s34
	s_delay_alu instid0(VALU_DEP_1) | instskip(NEXT) | instid1(VALU_DEP_3)
	v_add_co_ci_u32_e64 v23, s3, s35, v23, s3
	s_or_b32 s13, s2, s13
	s_delay_alu instid0(SALU_CYCLE_1)
	s_and_not1_b32 exec_lo, exec_lo, s13
	s_cbranch_execz .LBB12_9
.LBB12_17:                              ;   Parent Loop BB12_3 Depth=1
                                        ;     Parent Loop BB12_10 Depth=2
                                        ; =>    This Loop Header: Depth=3
                                        ;         Child Loop BB12_19 Depth 4
                                        ;           Child Loop BB12_20 Depth 5
	s_and_saveexec_b32 s3, vcc_lo
	s_cbranch_execz .LBB12_16
; %bb.18:                               ;   in Loop: Header=BB12_17 Depth=3
	s_mov_b32 s15, 0
	s_delay_alu instid0(SALU_CYCLE_1)
	s_mov_b32 s10, s15
	.p2align	6
.LBB12_19:                              ;   Parent Loop BB12_3 Depth=1
                                        ;     Parent Loop BB12_10 Depth=2
                                        ;       Parent Loop BB12_17 Depth=3
                                        ; =>      This Loop Header: Depth=4
                                        ;           Child Loop BB12_20 Depth 5
	s_delay_alu instid0(SALU_CYCLE_1) | instskip(SKIP_2) | instid1(VALU_DEP_1)
	s_lshl_b64 s[34:35], s[10:11], 3
	s_mov_b32 s31, 0
	v_add_co_u32 v11, s2, v22, s34
	v_add_co_ci_u32_e64 v12, s2, s35, v23, s2
	global_load_b64 v[2:3], v[11:12], off
.LBB12_20:                              ;   Parent Loop BB12_3 Depth=1
                                        ;     Parent Loop BB12_10 Depth=2
                                        ;       Parent Loop BB12_17 Depth=3
                                        ;         Parent Loop BB12_19 Depth=4
                                        ; =>        This Inner Loop Header: Depth=5
	s_waitcnt vmcnt(0)
	v_add_f64 v[0:1], v[2:3], v[9:10]
	global_atomic_cmpswap_b64 v[0:1], v[11:12], v[0:3], off glc
	s_waitcnt vmcnt(0)
	v_cmp_eq_u64_e64 s2, v[0:1], v[2:3]
	v_dual_mov_b32 v3, v1 :: v_dual_mov_b32 v2, v0
	s_delay_alu instid0(VALU_DEP_2) | instskip(NEXT) | instid1(SALU_CYCLE_1)
	s_or_b32 s31, s2, s31
	s_and_not1_b32 exec_lo, exec_lo, s31
	s_cbranch_execnz .LBB12_20
; %bb.21:                               ;   in Loop: Header=BB12_19 Depth=4
	s_or_b32 exec_lo, exec_lo, s31
	s_add_i32 s10, s10, 1
	s_delay_alu instid0(SALU_CYCLE_1) | instskip(NEXT) | instid1(VALU_DEP_1)
	v_cmp_eq_u32_e64 s2, s10, v24
	s_or_b32 s15, s2, s15
	s_delay_alu instid0(SALU_CYCLE_1)
	s_and_not1_b32 exec_lo, exec_lo, s15
	s_cbranch_execnz .LBB12_19
	s_branch .LBB12_16
.LBB12_22:
	s_endpgm
	.section	.rodata,"a",@progbits
	.p2align	6, 0x0
	.amdhsa_kernel _ZN2at6native12_GLOBAL__N_133atomic_adaptive_average_gradinputIdEEvPT_PKS3_iiii
		.amdhsa_group_segment_fixed_size 0
		.amdhsa_private_segment_fixed_size 0
		.amdhsa_kernarg_size 288
		.amdhsa_user_sgpr_count 14
		.amdhsa_user_sgpr_dispatch_ptr 0
		.amdhsa_user_sgpr_queue_ptr 0
		.amdhsa_user_sgpr_kernarg_segment_ptr 1
		.amdhsa_user_sgpr_dispatch_id 0
		.amdhsa_user_sgpr_private_segment_size 0
		.amdhsa_wavefront_size32 1
		.amdhsa_uses_dynamic_stack 0
		.amdhsa_enable_private_segment 0
		.amdhsa_system_sgpr_workgroup_id_x 1
		.amdhsa_system_sgpr_workgroup_id_y 1
		.amdhsa_system_sgpr_workgroup_id_z 0
		.amdhsa_system_sgpr_workgroup_info 0
		.amdhsa_system_vgpr_workitem_id 1
		.amdhsa_next_free_vgpr 30
		.amdhsa_next_free_sgpr 36
		.amdhsa_reserve_vcc 1
		.amdhsa_float_round_mode_32 0
		.amdhsa_float_round_mode_16_64 0
		.amdhsa_float_denorm_mode_32 3
		.amdhsa_float_denorm_mode_16_64 3
		.amdhsa_dx10_clamp 1
		.amdhsa_ieee_mode 1
		.amdhsa_fp16_overflow 0
		.amdhsa_workgroup_processor_mode 1
		.amdhsa_memory_ordered 1
		.amdhsa_forward_progress 0
		.amdhsa_shared_vgpr_count 0
		.amdhsa_exception_fp_ieee_invalid_op 0
		.amdhsa_exception_fp_denorm_src 0
		.amdhsa_exception_fp_ieee_div_zero 0
		.amdhsa_exception_fp_ieee_overflow 0
		.amdhsa_exception_fp_ieee_underflow 0
		.amdhsa_exception_fp_ieee_inexact 0
		.amdhsa_exception_int_div_zero 0
	.end_amdhsa_kernel
	.section	.text._ZN2at6native12_GLOBAL__N_133atomic_adaptive_average_gradinputIdEEvPT_PKS3_iiii,"axG",@progbits,_ZN2at6native12_GLOBAL__N_133atomic_adaptive_average_gradinputIdEEvPT_PKS3_iiii,comdat
.Lfunc_end12:
	.size	_ZN2at6native12_GLOBAL__N_133atomic_adaptive_average_gradinputIdEEvPT_PKS3_iiii, .Lfunc_end12-_ZN2at6native12_GLOBAL__N_133atomic_adaptive_average_gradinputIdEEvPT_PKS3_iiii
                                        ; -- End function
	.section	.AMDGPU.csdata,"",@progbits
; Kernel info:
; codeLenInByte = 3460
; NumSgprs: 38
; NumVgprs: 30
; ScratchSize: 0
; MemoryBound: 0
; FloatMode: 240
; IeeeMode: 1
; LDSByteSize: 0 bytes/workgroup (compile time only)
; SGPRBlocks: 4
; VGPRBlocks: 3
; NumSGPRsForWavesPerEU: 38
; NumVGPRsForWavesPerEU: 30
; Occupancy: 16
; WaveLimiterHint : 0
; COMPUTE_PGM_RSRC2:SCRATCH_EN: 0
; COMPUTE_PGM_RSRC2:USER_SGPR: 14
; COMPUTE_PGM_RSRC2:TRAP_HANDLER: 0
; COMPUTE_PGM_RSRC2:TGID_X_EN: 1
; COMPUTE_PGM_RSRC2:TGID_Y_EN: 1
; COMPUTE_PGM_RSRC2:TGID_Z_EN: 0
; COMPUTE_PGM_RSRC2:TIDIG_COMP_CNT: 1
	.section	.text._ZN2at6native12_GLOBAL__N_126adaptive_average_gradinputIdEEvPT_PKS3_iiii,"axG",@progbits,_ZN2at6native12_GLOBAL__N_126adaptive_average_gradinputIdEEvPT_PKS3_iiii,comdat
	.globl	_ZN2at6native12_GLOBAL__N_126adaptive_average_gradinputIdEEvPT_PKS3_iiii ; -- Begin function _ZN2at6native12_GLOBAL__N_126adaptive_average_gradinputIdEEvPT_PKS3_iiii
	.p2align	8
	.type	_ZN2at6native12_GLOBAL__N_126adaptive_average_gradinputIdEEvPT_PKS3_iiii,@function
_ZN2at6native12_GLOBAL__N_126adaptive_average_gradinputIdEEvPT_PKS3_iiii: ; @_ZN2at6native12_GLOBAL__N_126adaptive_average_gradinputIdEEvPT_PKS3_iiii
; %bb.0:
	s_clause 0x1
	s_load_b32 s10, s[0:1], 0x2c
	s_load_b128 s[4:7], s[0:1], 0x10
	v_bfe_u32 v3, v0, 10, 10
	s_add_u32 s8, s0, 32
	s_addc_u32 s9, s1, 0
	s_mov_b32 s2, exec_lo
	s_waitcnt lgkmcnt(0)
	s_lshr_b32 s11, s10, 16
	s_delay_alu instid0(SALU_CYCLE_1) | instskip(NEXT) | instid1(VALU_DEP_1)
	v_mad_u64_u32 v[1:2], null, s15, s11, v[3:4]
	v_cmpx_gt_i32_e64 s4, v1
	s_cbranch_execz .LBB13_28
; %bb.1:
	s_load_b128 s[0:3], s[0:1], 0x0
	s_mul_i32 s13, s14, s6
	s_load_b32 s23, s[8:9], 0x4
	s_mul_i32 s8, s13, s7
	s_mul_i32 s14, s14, s4
	s_ashr_i32 s9, s8, 31
	s_mul_i32 s18, s14, s5
	s_lshl_b64 s[8:9], s[8:9], 3
	s_mov_b32 s13, s4
	v_and_b32_e32 v17, 0x3ff, v0
	v_cvt_f32_u32_e32 v0, s13
	s_mov_b32 s12, s6
	s_mov_b32 s16, s7
	;; [unrolled: 1-line block ×4, first 2 shown]
	v_rcp_iflag_f32_e32 v0, v0
	s_waitcnt lgkmcnt(0)
	s_add_u32 s14, s2, s8
	s_addc_u32 s15, s3, s9
	s_ashr_i32 s19, s18, 31
	s_mul_i32 s23, s23, s11
	s_lshl_b64 s[2:3], s[18:19], 3
	s_delay_alu instid0(SALU_CYCLE_1)
	s_add_u32 s17, s0, s2
	s_addc_u32 s18, s1, s3
	s_abs_i32 s19, s4
	s_abs_i32 s22, s7
	v_cvt_f32_u32_e32 v2, s19
	v_cvt_f32_u32_e32 v5, s22
	s_abs_i32 s20, s5
	s_abs_i32 s21, s6
	v_cvt_f32_u32_e32 v3, s20
	v_rcp_iflag_f32_e32 v6, v2
	v_mov_b32_e32 v2, 0
	v_rcp_iflag_f32_e32 v5, v5
	v_cvt_f32_u32_e32 v4, s21
	s_sub_i32 s9, 0, s22
	v_rcp_iflag_f32_e32 v3, v3
	v_mul_f32_e32 v0, 0x4f7ffffe, v0
	s_sub_i32 s1, 0, s4
	v_rcp_iflag_f32_e32 v4, v4
	s_sub_i32 s2, 0, s19
	v_mul_f32_e32 v6, 0x4f7ffffe, v6
	s_sub_i32 s3, 0, s20
	v_mul_f32_e32 v5, 0x4f7ffffe, v5
	s_sub_i32 s8, 0, s21
	v_cmp_gt_i32_e64 s0, s5, v17
	s_waitcnt_depctr 0xfff
	v_mul_f32_e32 v3, 0x4f7ffffe, v3
	v_cvt_u32_f32_e32 v0, v0
	v_cvt_u32_f32_e32 v5, v5
	;; [unrolled: 1-line block ×3, first 2 shown]
	s_and_b32 s24, s10, 0xffff
	v_cvt_u32_f32_e32 v3, v3
	v_mul_lo_u32 v11, s1, v0
	v_mul_lo_u32 v10, s9, v5
	;; [unrolled: 1-line block ×3, first 2 shown]
	s_ashr_i32 s25, s6, 31
	v_mul_lo_u32 v8, s3, v3
	s_ashr_i32 s26, s4, 31
	s_ashr_i32 s27, s7, 31
	;; [unrolled: 1-line block ×3, first 2 shown]
	v_mul_hi_u32 v11, v0, v11
	v_mul_hi_u32 v10, v5, v10
	v_mul_f32_e32 v4, 0x4f7ffffe, v4
	v_mul_hi_u32 v7, v6, v7
	v_mul_hi_u32 v8, v3, v8
	s_sub_i32 s31, 0, s7
	v_add_nc_u32_e32 v22, v0, v11
	v_add_nc_u32_e32 v21, v5, v10
	v_cvt_u32_f32_e32 v4, v4
	v_add_nc_u32_e32 v18, v6, v7
	v_add_nc_u32_e32 v19, v3, v8
	s_delay_alu instid0(VALU_DEP_3) | instskip(NEXT) | instid1(VALU_DEP_1)
	v_mul_lo_u32 v9, s8, v4
	v_mul_hi_u32 v9, v4, v9
	s_delay_alu instid0(VALU_DEP_1)
	v_add_nc_u32_e32 v20, v4, v9
	s_branch .LBB13_3
.LBB13_2:                               ;   in Loop: Header=BB13_3 Depth=1
	s_or_b32 exec_lo, exec_lo, s33
	v_add_nc_u32_e32 v1, s23, v1
	s_delay_alu instid0(VALU_DEP_1) | instskip(SKIP_1) | instid1(SALU_CYCLE_1)
	v_cmp_le_i32_e32 vcc_lo, s4, v1
	s_or_b32 s30, vcc_lo, s30
	s_and_not1_b32 exec_lo, exec_lo, s30
	s_cbranch_execz .LBB13_28
.LBB13_3:                               ; =>This Loop Header: Depth=1
                                        ;     Child Loop BB13_10 Depth 2
                                        ;       Child Loop BB13_17 Depth 3
                                        ;         Child Loop BB13_24 Depth 4
	v_add_nc_u32_e32 v0, 1, v1
                                        ; implicit-def: $vgpr6_vgpr7
	s_mov_b32 s1, exec_lo
	s_delay_alu instid0(VALU_DEP_1) | instskip(NEXT) | instid1(VALU_DEP_1)
	v_mad_i64_i32 v[4:5], null, v0, s12, -1
	v_or_b32_e32 v3, s26, v5
	s_delay_alu instid0(VALU_DEP_1)
	v_cmpx_ne_u64_e32 0, v[2:3]
	s_xor_b32 s10, exec_lo, s1
	s_cbranch_execnz .LBB13_6
; %bb.4:                                ;   in Loop: Header=BB13_3 Depth=1
	s_and_not1_saveexec_b32 s1, s10
	s_cbranch_execnz .LBB13_7
.LBB13_5:                               ;   in Loop: Header=BB13_3 Depth=1
	s_or_b32 exec_lo, exec_lo, s1
	s_and_saveexec_b32 s33, s0
	s_cbranch_execz .LBB13_2
	s_branch .LBB13_8
.LBB13_6:                               ;   in Loop: Header=BB13_3 Depth=1
	s_add_u32 s8, s13, s26
	s_mov_b32 s2, s26
	s_mov_b32 s3, s26
	s_addc_u32 s9, s26, s26
	s_delay_alu instid0(SALU_CYCLE_1) | instskip(NEXT) | instid1(SALU_CYCLE_1)
	s_xor_b64 s[8:9], s[8:9], s[2:3]
	v_cvt_f32_u32_e32 v0, s8
	v_cvt_f32_u32_e32 v3, s9
	s_sub_u32 s1, 0, s8
	s_subb_u32 s3, 0, s9
	s_delay_alu instid0(VALU_DEP_1) | instskip(NEXT) | instid1(VALU_DEP_1)
	v_fmac_f32_e32 v0, 0x4f800000, v3
	v_rcp_f32_e32 v0, v0
	s_waitcnt_depctr 0xfff
	v_mul_f32_e32 v0, 0x5f7ffffc, v0
	s_delay_alu instid0(VALU_DEP_1) | instskip(NEXT) | instid1(VALU_DEP_1)
	v_mul_f32_e32 v3, 0x2f800000, v0
	v_trunc_f32_e32 v3, v3
	s_delay_alu instid0(VALU_DEP_1) | instskip(SKIP_1) | instid1(VALU_DEP_2)
	v_fmac_f32_e32 v0, 0xcf800000, v3
	v_cvt_u32_f32_e32 v3, v3
	v_cvt_u32_f32_e32 v0, v0
	s_delay_alu instid0(VALU_DEP_2) | instskip(NEXT) | instid1(VALU_DEP_2)
	v_mul_lo_u32 v6, s1, v3
	v_mul_hi_u32 v7, s1, v0
	v_mul_lo_u32 v8, s3, v0
	s_delay_alu instid0(VALU_DEP_2) | instskip(SKIP_1) | instid1(VALU_DEP_2)
	v_add_nc_u32_e32 v6, v7, v6
	v_mul_lo_u32 v7, s1, v0
	v_add_nc_u32_e32 v6, v6, v8
	s_delay_alu instid0(VALU_DEP_2) | instskip(NEXT) | instid1(VALU_DEP_2)
	v_mul_hi_u32 v8, v0, v7
	v_mul_lo_u32 v9, v0, v6
	v_mul_hi_u32 v10, v0, v6
	v_mul_hi_u32 v11, v3, v7
	v_mul_lo_u32 v7, v3, v7
	v_mul_hi_u32 v12, v3, v6
	v_mul_lo_u32 v6, v3, v6
	v_add_co_u32 v8, vcc_lo, v8, v9
	v_add_co_ci_u32_e32 v9, vcc_lo, 0, v10, vcc_lo
	s_delay_alu instid0(VALU_DEP_2) | instskip(NEXT) | instid1(VALU_DEP_2)
	v_add_co_u32 v7, vcc_lo, v8, v7
	v_add_co_ci_u32_e32 v7, vcc_lo, v9, v11, vcc_lo
	v_add_co_ci_u32_e32 v8, vcc_lo, 0, v12, vcc_lo
	v_ashrrev_i32_e32 v11, 31, v5
	s_delay_alu instid0(VALU_DEP_3) | instskip(NEXT) | instid1(VALU_DEP_3)
	v_add_co_u32 v6, vcc_lo, v7, v6
	v_add_co_ci_u32_e32 v7, vcc_lo, 0, v8, vcc_lo
	s_delay_alu instid0(VALU_DEP_2) | instskip(NEXT) | instid1(VALU_DEP_2)
	v_add_co_u32 v0, vcc_lo, v0, v6
	v_add_co_ci_u32_e32 v3, vcc_lo, v3, v7, vcc_lo
	s_delay_alu instid0(VALU_DEP_2) | instskip(SKIP_1) | instid1(VALU_DEP_3)
	v_mul_hi_u32 v6, s1, v0
	v_mul_lo_u32 v8, s3, v0
	v_mul_lo_u32 v7, s1, v3
	s_delay_alu instid0(VALU_DEP_1) | instskip(SKIP_1) | instid1(VALU_DEP_2)
	v_add_nc_u32_e32 v6, v6, v7
	v_mul_lo_u32 v7, s1, v0
	v_add_nc_u32_e32 v6, v6, v8
	s_delay_alu instid0(VALU_DEP_2) | instskip(NEXT) | instid1(VALU_DEP_2)
	v_mul_hi_u32 v8, v0, v7
	v_mul_lo_u32 v9, v0, v6
	v_mul_hi_u32 v10, v0, v6
	v_mul_hi_u32 v12, v3, v7
	v_mul_lo_u32 v7, v3, v7
	v_mul_hi_u32 v13, v3, v6
	v_mul_lo_u32 v6, v3, v6
	v_add_co_u32 v8, vcc_lo, v8, v9
	v_add_co_ci_u32_e32 v9, vcc_lo, 0, v10, vcc_lo
	s_delay_alu instid0(VALU_DEP_2) | instskip(NEXT) | instid1(VALU_DEP_2)
	v_add_co_u32 v7, vcc_lo, v8, v7
	v_add_co_ci_u32_e32 v7, vcc_lo, v9, v12, vcc_lo
	v_add_co_ci_u32_e32 v8, vcc_lo, 0, v13, vcc_lo
	v_add_co_u32 v4, vcc_lo, v4, v11
	v_add_co_ci_u32_e32 v5, vcc_lo, v5, v11, vcc_lo
	s_delay_alu instid0(VALU_DEP_4) | instskip(NEXT) | instid1(VALU_DEP_4)
	v_add_co_u32 v6, vcc_lo, v7, v6
	v_add_co_ci_u32_e32 v7, vcc_lo, 0, v8, vcc_lo
	s_delay_alu instid0(VALU_DEP_4) | instskip(NEXT) | instid1(VALU_DEP_3)
	v_xor_b32_e32 v9, v4, v11
	v_add_co_u32 v0, vcc_lo, v0, v6
	s_delay_alu instid0(VALU_DEP_3) | instskip(SKIP_1) | instid1(VALU_DEP_3)
	v_add_co_ci_u32_e32 v10, vcc_lo, v3, v7, vcc_lo
	v_xor_b32_e32 v12, v5, v11
	v_mul_hi_u32 v13, v9, v0
	s_delay_alu instid0(VALU_DEP_3) | instskip(NEXT) | instid1(VALU_DEP_3)
	v_mad_u64_u32 v[3:4], null, v9, v10, 0
	v_mad_u64_u32 v[5:6], null, v12, v0, 0
	;; [unrolled: 1-line block ×3, first 2 shown]
	s_delay_alu instid0(VALU_DEP_3) | instskip(NEXT) | instid1(VALU_DEP_4)
	v_add_co_u32 v0, vcc_lo, v13, v3
	v_add_co_ci_u32_e32 v3, vcc_lo, 0, v4, vcc_lo
	s_delay_alu instid0(VALU_DEP_2) | instskip(NEXT) | instid1(VALU_DEP_2)
	v_add_co_u32 v0, vcc_lo, v0, v5
	v_add_co_ci_u32_e32 v0, vcc_lo, v3, v6, vcc_lo
	v_add_co_ci_u32_e32 v3, vcc_lo, 0, v8, vcc_lo
	s_delay_alu instid0(VALU_DEP_2) | instskip(NEXT) | instid1(VALU_DEP_2)
	v_add_co_u32 v0, vcc_lo, v0, v7
	v_add_co_ci_u32_e32 v5, vcc_lo, 0, v3, vcc_lo
	s_delay_alu instid0(VALU_DEP_2) | instskip(SKIP_1) | instid1(VALU_DEP_3)
	v_mul_lo_u32 v6, s9, v0
	v_mad_u64_u32 v[3:4], null, s8, v0, 0
	v_mul_lo_u32 v5, s8, v5
	s_delay_alu instid0(VALU_DEP_2) | instskip(NEXT) | instid1(VALU_DEP_2)
	v_sub_co_u32 v3, vcc_lo, v9, v3
	v_add3_u32 v4, v4, v5, v6
	v_add_co_u32 v6, s1, v0, 2
	s_delay_alu instid0(VALU_DEP_2) | instskip(NEXT) | instid1(VALU_DEP_1)
	v_sub_nc_u32_e32 v5, v12, v4
	v_subrev_co_ci_u32_e64 v5, s1, s9, v5, vcc_lo
	v_sub_co_u32 v7, s1, v3, s8
	v_sub_co_ci_u32_e32 v4, vcc_lo, v12, v4, vcc_lo
	s_delay_alu instid0(VALU_DEP_3) | instskip(NEXT) | instid1(VALU_DEP_3)
	v_subrev_co_ci_u32_e64 v5, s1, 0, v5, s1
	v_cmp_le_u32_e32 vcc_lo, s8, v7
	v_cndmask_b32_e64 v7, 0, -1, vcc_lo
	s_delay_alu instid0(VALU_DEP_3)
	v_cmp_le_u32_e32 vcc_lo, s9, v5
	v_cndmask_b32_e64 v8, 0, -1, vcc_lo
	v_cmp_le_u32_e32 vcc_lo, s8, v3
	v_cndmask_b32_e64 v3, 0, -1, vcc_lo
	;; [unrolled: 2-line block ×3, first 2 shown]
	v_cmp_eq_u32_e32 vcc_lo, s9, v5
	v_cndmask_b32_e32 v5, v8, v7, vcc_lo
	v_add_co_u32 v7, vcc_lo, v0, 1
	v_cmp_eq_u32_e32 vcc_lo, s9, v4
	v_cndmask_b32_e32 v3, v9, v3, vcc_lo
	s_delay_alu instid0(VALU_DEP_4) | instskip(NEXT) | instid1(VALU_DEP_4)
	v_cmp_ne_u32_e32 vcc_lo, 0, v5
	v_cndmask_b32_e32 v4, v7, v6, vcc_lo
	s_delay_alu instid0(VALU_DEP_3) | instskip(SKIP_1) | instid1(VALU_DEP_3)
	v_cmp_ne_u32_e32 vcc_lo, 0, v3
	v_xor_b32_e32 v3, s2, v11
	v_cndmask_b32_e32 v0, v0, v4, vcc_lo
                                        ; implicit-def: $vgpr4_vgpr5
	s_delay_alu instid0(VALU_DEP_1) | instskip(NEXT) | instid1(VALU_DEP_1)
	v_xor_b32_e32 v0, v0, v3
	v_sub_co_u32 v6, vcc_lo, v0, v3
	s_and_not1_saveexec_b32 s1, s10
	s_cbranch_execz .LBB13_5
.LBB13_7:                               ;   in Loop: Header=BB13_3 Depth=1
	s_delay_alu instid0(VALU_DEP_3) | instskip(NEXT) | instid1(VALU_DEP_1)
	v_mul_hi_u32 v0, v4, v22
	v_mul_lo_u32 v3, v0, s13
	s_delay_alu instid0(VALU_DEP_1) | instskip(NEXT) | instid1(VALU_DEP_1)
	v_sub_nc_u32_e32 v3, v4, v3
	v_subrev_nc_u32_e32 v5, s13, v3
	v_cmp_le_u32_e32 vcc_lo, s13, v3
	s_delay_alu instid0(VALU_DEP_2) | instskip(NEXT) | instid1(VALU_DEP_1)
	v_dual_cndmask_b32 v3, v3, v5 :: v_dual_add_nc_u32 v4, 1, v0
	v_cndmask_b32_e32 v0, v0, v4, vcc_lo
	s_delay_alu instid0(VALU_DEP_2) | instskip(NEXT) | instid1(VALU_DEP_2)
	v_cmp_le_u32_e32 vcc_lo, s13, v3
	v_add_nc_u32_e32 v4, 1, v0
	s_delay_alu instid0(VALU_DEP_1)
	v_cndmask_b32_e32 v6, v0, v4, vcc_lo
	s_or_b32 exec_lo, exec_lo, s1
	s_and_saveexec_b32 s33, s0
	s_cbranch_execz .LBB13_2
.LBB13_8:                               ;   in Loop: Header=BB13_3 Depth=1
	v_sub_nc_u32_e32 v0, 0, v1
	s_mov_b32 s34, 0
	v_add_nc_u32_e32 v23, 1, v6
	s_delay_alu instid0(VALU_DEP_2) | instskip(NEXT) | instid1(VALU_DEP_1)
	v_max_i32_e32 v0, v1, v0
	v_mul_hi_u32 v3, v0, v18
	s_delay_alu instid0(VALU_DEP_1) | instskip(NEXT) | instid1(VALU_DEP_1)
	v_mul_lo_u32 v4, v3, s19
	v_sub_nc_u32_e32 v0, v0, v4
	v_add_nc_u32_e32 v4, 1, v3
	s_delay_alu instid0(VALU_DEP_2) | instskip(SKIP_1) | instid1(VALU_DEP_2)
	v_subrev_nc_u32_e32 v5, s19, v0
	v_cmp_le_u32_e32 vcc_lo, s19, v0
	v_dual_cndmask_b32 v3, v3, v4 :: v_dual_cndmask_b32 v0, v0, v5
	v_ashrrev_i32_e32 v4, 31, v1
	s_delay_alu instid0(VALU_DEP_2) | instskip(NEXT) | instid1(VALU_DEP_3)
	v_add_nc_u32_e32 v5, 1, v3
	v_cmp_le_u32_e32 vcc_lo, s19, v0
	s_delay_alu instid0(VALU_DEP_3) | instskip(NEXT) | instid1(VALU_DEP_3)
	v_xor_b32_e32 v4, s26, v4
	v_cndmask_b32_e32 v0, v3, v5, vcc_lo
	s_delay_alu instid0(VALU_DEP_1) | instskip(NEXT) | instid1(VALU_DEP_1)
	v_xor_b32_e32 v0, v0, v4
	v_sub_nc_u32_e32 v3, v0, v4
	s_delay_alu instid0(VALU_DEP_1) | instskip(NEXT) | instid1(VALU_DEP_1)
	v_mul_lo_u32 v0, v3, s4
	v_sub_nc_u32_e32 v0, v1, v0
	s_delay_alu instid0(VALU_DEP_1) | instskip(NEXT) | instid1(VALU_DEP_1)
	v_mul_lo_u32 v0, v0, s6
	v_sub_nc_u32_e32 v4, 0, v0
	s_delay_alu instid0(VALU_DEP_1) | instskip(SKIP_1) | instid1(VALU_DEP_2)
	v_max_i32_e32 v4, v0, v4
	v_ashrrev_i32_e32 v0, 31, v0
	v_mul_hi_u32 v5, v4, v18
	s_delay_alu instid0(VALU_DEP_2) | instskip(NEXT) | instid1(VALU_DEP_2)
	v_xor_b32_e32 v0, s26, v0
	v_mul_lo_u32 v7, v5, s19
	s_delay_alu instid0(VALU_DEP_1) | instskip(SKIP_1) | instid1(VALU_DEP_2)
	v_sub_nc_u32_e32 v4, v4, v7
	v_add_nc_u32_e32 v7, 1, v5
	v_subrev_nc_u32_e32 v8, s19, v4
	v_cmp_le_u32_e32 vcc_lo, s19, v4
	s_delay_alu instid0(VALU_DEP_2) | instskip(NEXT) | instid1(VALU_DEP_1)
	v_dual_cndmask_b32 v5, v5, v7 :: v_dual_cndmask_b32 v4, v4, v8
	v_add_nc_u32_e32 v7, 1, v5
	s_delay_alu instid0(VALU_DEP_2) | instskip(NEXT) | instid1(VALU_DEP_2)
	v_cmp_le_u32_e32 vcc_lo, s19, v4
	v_cndmask_b32_e32 v4, v5, v7, vcc_lo
	v_mul_lo_u32 v7, v1, s5
	s_delay_alu instid0(VALU_DEP_2) | instskip(NEXT) | instid1(VALU_DEP_2)
	v_xor_b32_e32 v4, v4, v0
	v_ashrrev_i32_e32 v8, 31, v7
	s_delay_alu instid0(VALU_DEP_2) | instskip(NEXT) | instid1(VALU_DEP_2)
	v_sub_nc_u32_e32 v0, v4, v0
	v_lshlrev_b64 v[7:8], 3, v[7:8]
	s_delay_alu instid0(VALU_DEP_2) | instskip(SKIP_1) | instid1(VALU_DEP_3)
	v_mad_u64_u32 v[4:5], null, v3, s6, v[0:1]
	v_mov_b32_e32 v5, v17
	v_add_co_u32 v25, vcc_lo, s17, v7
	s_delay_alu instid0(VALU_DEP_4) | instskip(NEXT) | instid1(VALU_DEP_4)
	v_add_co_ci_u32_e32 v26, vcc_lo, s18, v8, vcc_lo
	v_mul_lo_u32 v24, s7, v4
	v_cmp_lt_i32_e64 s1, v4, v23
	s_branch .LBB13_10
.LBB13_9:                               ;   in Loop: Header=BB13_10 Depth=2
	s_or_b32 exec_lo, exec_lo, s35
	v_add_nc_u32_e32 v5, s24, v5
	s_delay_alu instid0(VALU_DEP_1) | instskip(SKIP_1) | instid1(SALU_CYCLE_1)
	v_cmp_le_i32_e32 vcc_lo, s5, v5
	s_or_b32 s34, vcc_lo, s34
	s_and_not1_b32 exec_lo, exec_lo, s34
	s_cbranch_execz .LBB13_2
.LBB13_10:                              ;   Parent Loop BB13_3 Depth=1
                                        ; =>  This Loop Header: Depth=2
                                        ;       Child Loop BB13_17 Depth 3
                                        ;         Child Loop BB13_24 Depth 4
	v_add_nc_u32_e32 v3, 1, v5
	s_mov_b32 s2, exec_lo
	s_delay_alu instid0(VALU_DEP_1) | instskip(NEXT) | instid1(VALU_DEP_1)
	v_mad_u64_u32 v[6:7], null, v3, s16, -1
	v_mov_b32_e32 v0, v7
	s_delay_alu instid0(VALU_DEP_1) | instskip(NEXT) | instid1(VALU_DEP_1)
	v_mad_u64_u32 v[7:8], null, v3, s27, v[0:1]
                                        ; implicit-def: $vgpr8_vgpr9
	v_mov_b32_e32 v0, v7
	s_delay_alu instid0(VALU_DEP_1) | instskip(NEXT) | instid1(VALU_DEP_1)
	v_or_b32_e32 v3, s28, v0
	v_cmpx_ne_u64_e32 0, v[2:3]
	s_xor_b32 s3, exec_lo, s2
	s_cbranch_execnz .LBB13_13
; %bb.11:                               ;   in Loop: Header=BB13_10 Depth=2
	s_and_not1_saveexec_b32 s2, s3
	s_cbranch_execnz .LBB13_14
.LBB13_12:                              ;   in Loop: Header=BB13_10 Depth=2
	s_or_b32 exec_lo, exec_lo, s2
	v_mov_b32_e32 v6, v2
	s_and_saveexec_b32 s35, s1
	s_cbranch_execz .LBB13_9
	s_branch .LBB13_15
.LBB13_13:                              ;   in Loop: Header=BB13_10 Depth=2
	s_add_u32 s10, s29, s28
	s_mov_b32 s8, s28
	s_mov_b32 s9, s28
	s_addc_u32 s11, s28, s28
	s_delay_alu instid0(SALU_CYCLE_1) | instskip(NEXT) | instid1(SALU_CYCLE_1)
	s_xor_b64 s[10:11], s[10:11], s[8:9]
	v_cvt_f32_u32_e32 v3, s10
	v_cvt_f32_u32_e32 v7, s11
	s_sub_u32 s2, 0, s10
	s_subb_u32 s9, 0, s11
	s_delay_alu instid0(VALU_DEP_1) | instskip(NEXT) | instid1(VALU_DEP_1)
	v_fmac_f32_e32 v3, 0x4f800000, v7
	v_rcp_f32_e32 v3, v3
	s_waitcnt_depctr 0xfff
	v_mul_f32_e32 v3, 0x5f7ffffc, v3
	s_delay_alu instid0(VALU_DEP_1) | instskip(NEXT) | instid1(VALU_DEP_1)
	v_mul_f32_e32 v7, 0x2f800000, v3
	v_trunc_f32_e32 v7, v7
	s_delay_alu instid0(VALU_DEP_1) | instskip(SKIP_1) | instid1(VALU_DEP_2)
	v_fmac_f32_e32 v3, 0xcf800000, v7
	v_cvt_u32_f32_e32 v7, v7
	v_cvt_u32_f32_e32 v3, v3
	s_delay_alu instid0(VALU_DEP_2) | instskip(NEXT) | instid1(VALU_DEP_2)
	v_mul_lo_u32 v8, s2, v7
	v_mul_hi_u32 v9, s2, v3
	v_mul_lo_u32 v10, s9, v3
	s_delay_alu instid0(VALU_DEP_2) | instskip(SKIP_1) | instid1(VALU_DEP_2)
	v_add_nc_u32_e32 v8, v9, v8
	v_mul_lo_u32 v9, s2, v3
	v_add_nc_u32_e32 v8, v8, v10
	s_delay_alu instid0(VALU_DEP_2) | instskip(NEXT) | instid1(VALU_DEP_2)
	v_mul_hi_u32 v10, v3, v9
	v_mul_lo_u32 v11, v3, v8
	v_mul_hi_u32 v12, v3, v8
	v_mul_hi_u32 v13, v7, v9
	v_mul_lo_u32 v9, v7, v9
	v_mul_hi_u32 v14, v7, v8
	v_mul_lo_u32 v8, v7, v8
	v_add_co_u32 v10, vcc_lo, v10, v11
	v_add_co_ci_u32_e32 v11, vcc_lo, 0, v12, vcc_lo
	s_delay_alu instid0(VALU_DEP_2) | instskip(NEXT) | instid1(VALU_DEP_2)
	v_add_co_u32 v9, vcc_lo, v10, v9
	v_add_co_ci_u32_e32 v9, vcc_lo, v11, v13, vcc_lo
	v_add_co_ci_u32_e32 v10, vcc_lo, 0, v14, vcc_lo
	v_ashrrev_i32_e32 v13, 31, v0
	s_delay_alu instid0(VALU_DEP_3) | instskip(NEXT) | instid1(VALU_DEP_3)
	v_add_co_u32 v8, vcc_lo, v9, v8
	v_add_co_ci_u32_e32 v9, vcc_lo, 0, v10, vcc_lo
	s_delay_alu instid0(VALU_DEP_2) | instskip(NEXT) | instid1(VALU_DEP_2)
	v_add_co_u32 v3, vcc_lo, v3, v8
	v_add_co_ci_u32_e32 v7, vcc_lo, v7, v9, vcc_lo
	s_delay_alu instid0(VALU_DEP_2) | instskip(SKIP_1) | instid1(VALU_DEP_3)
	v_mul_hi_u32 v8, s2, v3
	v_mul_lo_u32 v10, s9, v3
	v_mul_lo_u32 v9, s2, v7
	s_delay_alu instid0(VALU_DEP_1) | instskip(SKIP_1) | instid1(VALU_DEP_2)
	v_add_nc_u32_e32 v8, v8, v9
	v_mul_lo_u32 v9, s2, v3
	v_add_nc_u32_e32 v8, v8, v10
	s_delay_alu instid0(VALU_DEP_2) | instskip(NEXT) | instid1(VALU_DEP_2)
	v_mul_hi_u32 v10, v3, v9
	v_mul_lo_u32 v11, v3, v8
	v_mul_hi_u32 v12, v3, v8
	v_mul_hi_u32 v14, v7, v9
	v_mul_lo_u32 v9, v7, v9
	v_mul_hi_u32 v15, v7, v8
	v_mul_lo_u32 v8, v7, v8
	v_add_co_u32 v10, vcc_lo, v10, v11
	v_add_co_ci_u32_e32 v11, vcc_lo, 0, v12, vcc_lo
	s_delay_alu instid0(VALU_DEP_2) | instskip(NEXT) | instid1(VALU_DEP_2)
	v_add_co_u32 v9, vcc_lo, v10, v9
	v_add_co_ci_u32_e32 v9, vcc_lo, v11, v14, vcc_lo
	v_add_co_ci_u32_e32 v10, vcc_lo, 0, v15, vcc_lo
	v_add_co_u32 v6, vcc_lo, v6, v13
	v_add_co_ci_u32_e32 v0, vcc_lo, v0, v13, vcc_lo
	s_delay_alu instid0(VALU_DEP_4) | instskip(NEXT) | instid1(VALU_DEP_4)
	v_add_co_u32 v8, vcc_lo, v9, v8
	v_add_co_ci_u32_e32 v9, vcc_lo, 0, v10, vcc_lo
	s_delay_alu instid0(VALU_DEP_4) | instskip(NEXT) | instid1(VALU_DEP_3)
	v_xor_b32_e32 v12, v6, v13
	v_add_co_u32 v3, vcc_lo, v3, v8
	s_delay_alu instid0(VALU_DEP_3) | instskip(SKIP_1) | instid1(VALU_DEP_3)
	v_add_co_ci_u32_e32 v14, vcc_lo, v7, v9, vcc_lo
	v_xor_b32_e32 v0, v0, v13
	v_mul_hi_u32 v15, v12, v3
	s_delay_alu instid0(VALU_DEP_3) | instskip(NEXT) | instid1(VALU_DEP_3)
	v_mad_u64_u32 v[6:7], null, v12, v14, 0
	v_mad_u64_u32 v[8:9], null, v0, v3, 0
	;; [unrolled: 1-line block ×3, first 2 shown]
	s_delay_alu instid0(VALU_DEP_3) | instskip(NEXT) | instid1(VALU_DEP_4)
	v_add_co_u32 v3, vcc_lo, v15, v6
	v_add_co_ci_u32_e32 v6, vcc_lo, 0, v7, vcc_lo
	s_delay_alu instid0(VALU_DEP_2) | instskip(NEXT) | instid1(VALU_DEP_2)
	v_add_co_u32 v3, vcc_lo, v3, v8
	v_add_co_ci_u32_e32 v3, vcc_lo, v6, v9, vcc_lo
	v_add_co_ci_u32_e32 v6, vcc_lo, 0, v11, vcc_lo
	s_delay_alu instid0(VALU_DEP_2) | instskip(NEXT) | instid1(VALU_DEP_2)
	v_add_co_u32 v3, vcc_lo, v3, v10
	v_add_co_ci_u32_e32 v8, vcc_lo, 0, v6, vcc_lo
	s_delay_alu instid0(VALU_DEP_2) | instskip(SKIP_1) | instid1(VALU_DEP_3)
	v_mul_lo_u32 v9, s11, v3
	v_mad_u64_u32 v[6:7], null, s10, v3, 0
	v_mul_lo_u32 v8, s10, v8
	s_delay_alu instid0(VALU_DEP_2) | instskip(NEXT) | instid1(VALU_DEP_2)
	v_sub_co_u32 v6, vcc_lo, v12, v6
	v_add3_u32 v7, v7, v8, v9
	v_add_co_u32 v9, s2, v3, 2
	s_delay_alu instid0(VALU_DEP_2) | instskip(NEXT) | instid1(VALU_DEP_1)
	v_sub_nc_u32_e32 v8, v0, v7
	v_subrev_co_ci_u32_e64 v8, s2, s11, v8, vcc_lo
	v_sub_co_u32 v10, s2, v6, s10
	v_sub_co_ci_u32_e32 v0, vcc_lo, v0, v7, vcc_lo
	s_delay_alu instid0(VALU_DEP_3) | instskip(NEXT) | instid1(VALU_DEP_3)
	v_subrev_co_ci_u32_e64 v8, s2, 0, v8, s2
	v_cmp_le_u32_e32 vcc_lo, s10, v10
	v_cndmask_b32_e64 v7, 0, -1, vcc_lo
	s_delay_alu instid0(VALU_DEP_3)
	v_cmp_le_u32_e32 vcc_lo, s11, v8
	v_cndmask_b32_e64 v10, 0, -1, vcc_lo
	v_cmp_le_u32_e32 vcc_lo, s10, v6
	v_cndmask_b32_e64 v6, 0, -1, vcc_lo
	;; [unrolled: 2-line block ×3, first 2 shown]
	v_cmp_eq_u32_e32 vcc_lo, s11, v8
	v_cndmask_b32_e32 v7, v10, v7, vcc_lo
	v_add_co_u32 v8, vcc_lo, v3, 1
	v_cmp_eq_u32_e32 vcc_lo, s11, v0
	v_cndmask_b32_e32 v0, v11, v6, vcc_lo
	s_delay_alu instid0(VALU_DEP_4) | instskip(NEXT) | instid1(VALU_DEP_4)
	v_cmp_ne_u32_e32 vcc_lo, 0, v7
	v_cndmask_b32_e32 v6, v8, v9, vcc_lo
	s_delay_alu instid0(VALU_DEP_3) | instskip(NEXT) | instid1(VALU_DEP_2)
	v_cmp_ne_u32_e32 vcc_lo, 0, v0
	v_cndmask_b32_e32 v0, v3, v6, vcc_lo
	v_xor_b32_e32 v3, s8, v13
                                        ; implicit-def: $vgpr6_vgpr7
	s_delay_alu instid0(VALU_DEP_1) | instskip(NEXT) | instid1(VALU_DEP_1)
	v_xor_b32_e32 v0, v0, v3
	v_sub_co_u32 v8, vcc_lo, v0, v3
	s_and_not1_saveexec_b32 s2, s3
	s_cbranch_execz .LBB13_12
.LBB13_14:                              ;   in Loop: Header=BB13_10 Depth=2
	v_cvt_f32_u32_e32 v0, s29
	s_sub_i32 s3, 0, s29
	s_delay_alu instid0(VALU_DEP_1) | instskip(SKIP_2) | instid1(VALU_DEP_1)
	v_rcp_iflag_f32_e32 v0, v0
	s_waitcnt_depctr 0xfff
	v_mul_f32_e32 v0, 0x4f7ffffe, v0
	v_cvt_u32_f32_e32 v0, v0
	s_delay_alu instid0(VALU_DEP_1) | instskip(NEXT) | instid1(VALU_DEP_1)
	v_mul_lo_u32 v3, s3, v0
	v_mul_hi_u32 v3, v0, v3
	s_delay_alu instid0(VALU_DEP_1) | instskip(NEXT) | instid1(VALU_DEP_1)
	v_add_nc_u32_e32 v0, v0, v3
	v_mul_hi_u32 v0, v6, v0
	s_delay_alu instid0(VALU_DEP_1) | instskip(NEXT) | instid1(VALU_DEP_1)
	v_mul_lo_u32 v3, v0, s29
	v_sub_nc_u32_e32 v3, v6, v3
	v_add_nc_u32_e32 v6, 1, v0
	s_delay_alu instid0(VALU_DEP_2) | instskip(SKIP_1) | instid1(VALU_DEP_2)
	v_subrev_nc_u32_e32 v7, s29, v3
	v_cmp_le_u32_e32 vcc_lo, s29, v3
	v_dual_cndmask_b32 v3, v3, v7 :: v_dual_cndmask_b32 v0, v0, v6
	s_delay_alu instid0(VALU_DEP_1) | instskip(NEXT) | instid1(VALU_DEP_2)
	v_cmp_le_u32_e32 vcc_lo, s29, v3
	v_add_nc_u32_e32 v6, 1, v0
	s_delay_alu instid0(VALU_DEP_1)
	v_cndmask_b32_e32 v8, v0, v6, vcc_lo
	s_or_b32 exec_lo, exec_lo, s2
	v_mov_b32_e32 v6, v2
	s_and_saveexec_b32 s35, s1
	s_cbranch_execz .LBB13_9
.LBB13_15:                              ;   in Loop: Header=BB13_10 Depth=2
	v_mul_lo_u32 v0, v5, s7
	v_mul_hi_u32 v7, v5, v19
	v_add_nc_u32_e32 v27, 1, v8
	s_mov_b32 s36, 0
	v_mov_b32_e32 v28, v24
	s_delay_alu instid0(VALU_DEP_4) | instskip(NEXT) | instid1(VALU_DEP_4)
	v_sub_nc_u32_e32 v3, 0, v0
	v_mul_lo_u32 v10, v7, s20
	v_add_nc_u32_e32 v12, 1, v7
	s_delay_alu instid0(VALU_DEP_3) | instskip(SKIP_1) | instid1(VALU_DEP_4)
	v_max_i32_e32 v3, v0, v3
	v_ashrrev_i32_e32 v0, 31, v0
	v_sub_nc_u32_e32 v10, v5, v10
	s_delay_alu instid0(VALU_DEP_3) | instskip(NEXT) | instid1(VALU_DEP_3)
	v_mul_hi_u32 v9, v3, v19
	v_xor_b32_e32 v0, s28, v0
	s_delay_alu instid0(VALU_DEP_3) | instskip(NEXT) | instid1(VALU_DEP_3)
	v_cmp_le_u32_e32 vcc_lo, s20, v10
	v_mul_lo_u32 v11, v9, s20
	v_cndmask_b32_e32 v7, v7, v12, vcc_lo
	v_subrev_nc_u32_e32 v12, s20, v10
	s_delay_alu instid0(VALU_DEP_1) | instskip(NEXT) | instid1(VALU_DEP_4)
	v_cndmask_b32_e32 v10, v10, v12, vcc_lo
	v_sub_nc_u32_e32 v3, v3, v11
	v_add_nc_u32_e32 v11, 1, v9
	s_delay_alu instid0(VALU_DEP_3) | instskip(NEXT) | instid1(VALU_DEP_3)
	v_cmp_le_u32_e32 vcc_lo, s20, v10
	v_cmp_le_u32_e64 s2, s20, v3
	v_subrev_nc_u32_e32 v13, s20, v3
	s_delay_alu instid0(VALU_DEP_2) | instskip(NEXT) | instid1(VALU_DEP_2)
	v_cndmask_b32_e64 v9, v9, v11, s2
	v_cndmask_b32_e64 v3, v3, v13, s2
	s_delay_alu instid0(VALU_DEP_2) | instskip(SKIP_1) | instid1(VALU_DEP_1)
	v_add_nc_u32_e32 v12, 1, v9
	v_add_nc_u32_e32 v11, 1, v7
	v_cndmask_b32_e32 v7, v7, v11, vcc_lo
	s_delay_alu instid0(VALU_DEP_4) | instskip(NEXT) | instid1(VALU_DEP_2)
	v_cmp_le_u32_e32 vcc_lo, s20, v3
	v_xor_b32_e32 v7, s28, v7
	v_cndmask_b32_e32 v3, v9, v12, vcc_lo
	v_lshlrev_b64 v[9:10], 3, v[5:6]
	s_delay_alu instid0(VALU_DEP_3) | instskip(NEXT) | instid1(VALU_DEP_3)
	v_subrev_nc_u32_e32 v11, s28, v7
	v_xor_b32_e32 v3, v3, v0
	s_delay_alu instid0(VALU_DEP_1) | instskip(NEXT) | instid1(VALU_DEP_1)
	v_sub_nc_u32_e32 v0, v3, v0
	v_mad_u64_u32 v[6:7], null, v11, s7, v[0:1]
	v_mov_b32_e32 v0, v4
	v_add_co_u32 v7, vcc_lo, v25, v9
	v_add_co_ci_u32_e32 v8, vcc_lo, v26, v10, vcc_lo
	s_delay_alu instid0(VALU_DEP_4)
	v_cmp_lt_i32_e64 s2, v6, v27
	s_branch .LBB13_17
.LBB13_16:                              ;   in Loop: Header=BB13_17 Depth=3
	s_or_b32 exec_lo, exec_lo, s37
	s_delay_alu instid0(VALU_DEP_1) | instskip(SKIP_3) | instid1(SALU_CYCLE_1)
	v_cmp_ge_i32_e32 vcc_lo, v29, v23
	v_add_nc_u32_e32 v28, s7, v28
	v_mov_b32_e32 v0, v29
	s_or_b32 s36, vcc_lo, s36
	s_and_not1_b32 exec_lo, exec_lo, s36
	s_cbranch_execz .LBB13_9
.LBB13_17:                              ;   Parent Loop BB13_3 Depth=1
                                        ;     Parent Loop BB13_10 Depth=2
                                        ; =>    This Loop Header: Depth=3
                                        ;         Child Loop BB13_24 Depth 4
	s_delay_alu instid0(VALU_DEP_1) | instskip(NEXT) | instid1(VALU_DEP_2)
	v_add_nc_u32_e32 v29, 1, v0
	s_and_saveexec_b32 s37, s2
	s_cbranch_execz .LBB13_16
; %bb.18:                               ;   in Loop: Header=BB13_17 Depth=3
	s_delay_alu instid0(VALU_DEP_1) | instskip(SKIP_1) | instid1(VALU_DEP_1)
	v_mad_i64_i32 v[9:10], null, v29, s13, -1
                                        ; implicit-def: $vgpr11_vgpr12
	s_mov_b32 s3, exec_lo
	v_or_b32_e32 v3, s25, v10
	s_delay_alu instid0(VALU_DEP_1)
	v_cmpx_ne_u64_e32 0, v[2:3]
	s_xor_b32 s38, exec_lo, s3
	s_cbranch_execz .LBB13_20
; %bb.19:                               ;   in Loop: Header=BB13_17 Depth=3
	s_add_u32 s10, s12, s25
	s_mov_b32 s8, s25
	s_mov_b32 s9, s25
	s_addc_u32 s11, s25, s25
	s_delay_alu instid0(SALU_CYCLE_1) | instskip(NEXT) | instid1(SALU_CYCLE_1)
	s_xor_b64 s[10:11], s[10:11], s[8:9]
	v_cvt_f32_u32_e32 v3, s10
	v_cvt_f32_u32_e32 v11, s11
	s_sub_u32 s3, 0, s10
	s_subb_u32 s9, 0, s11
	s_delay_alu instid0(VALU_DEP_1) | instskip(NEXT) | instid1(VALU_DEP_1)
	v_fmac_f32_e32 v3, 0x4f800000, v11
	v_rcp_f32_e32 v3, v3
	s_waitcnt_depctr 0xfff
	v_mul_f32_e32 v3, 0x5f7ffffc, v3
	s_delay_alu instid0(VALU_DEP_1) | instskip(NEXT) | instid1(VALU_DEP_1)
	v_mul_f32_e32 v11, 0x2f800000, v3
	v_trunc_f32_e32 v11, v11
	s_delay_alu instid0(VALU_DEP_1) | instskip(SKIP_1) | instid1(VALU_DEP_2)
	v_fmac_f32_e32 v3, 0xcf800000, v11
	v_cvt_u32_f32_e32 v11, v11
	v_cvt_u32_f32_e32 v3, v3
	s_delay_alu instid0(VALU_DEP_2) | instskip(NEXT) | instid1(VALU_DEP_2)
	v_mul_lo_u32 v12, s3, v11
	v_mul_hi_u32 v13, s3, v3
	v_mul_lo_u32 v14, s9, v3
	s_delay_alu instid0(VALU_DEP_2) | instskip(SKIP_1) | instid1(VALU_DEP_2)
	v_add_nc_u32_e32 v12, v13, v12
	v_mul_lo_u32 v13, s3, v3
	v_add_nc_u32_e32 v12, v12, v14
	s_delay_alu instid0(VALU_DEP_2) | instskip(NEXT) | instid1(VALU_DEP_2)
	v_mul_hi_u32 v14, v3, v13
	v_mul_lo_u32 v15, v3, v12
	v_mul_hi_u32 v16, v3, v12
	v_mul_hi_u32 v30, v11, v13
	v_mul_lo_u32 v13, v11, v13
	v_mul_hi_u32 v31, v11, v12
	v_mul_lo_u32 v12, v11, v12
	v_add_co_u32 v14, vcc_lo, v14, v15
	v_add_co_ci_u32_e32 v15, vcc_lo, 0, v16, vcc_lo
	s_delay_alu instid0(VALU_DEP_2) | instskip(NEXT) | instid1(VALU_DEP_2)
	v_add_co_u32 v13, vcc_lo, v14, v13
	v_add_co_ci_u32_e32 v13, vcc_lo, v15, v30, vcc_lo
	v_add_co_ci_u32_e32 v14, vcc_lo, 0, v31, vcc_lo
	v_ashrrev_i32_e32 v30, 31, v10
	s_delay_alu instid0(VALU_DEP_3) | instskip(NEXT) | instid1(VALU_DEP_3)
	v_add_co_u32 v12, vcc_lo, v13, v12
	v_add_co_ci_u32_e32 v13, vcc_lo, 0, v14, vcc_lo
	s_delay_alu instid0(VALU_DEP_2) | instskip(NEXT) | instid1(VALU_DEP_2)
	v_add_co_u32 v3, vcc_lo, v3, v12
	v_add_co_ci_u32_e32 v11, vcc_lo, v11, v13, vcc_lo
	s_delay_alu instid0(VALU_DEP_2) | instskip(SKIP_1) | instid1(VALU_DEP_3)
	v_mul_hi_u32 v12, s3, v3
	v_mul_lo_u32 v14, s9, v3
	v_mul_lo_u32 v13, s3, v11
	s_delay_alu instid0(VALU_DEP_1) | instskip(SKIP_1) | instid1(VALU_DEP_2)
	v_add_nc_u32_e32 v12, v12, v13
	v_mul_lo_u32 v13, s3, v3
	v_add_nc_u32_e32 v12, v12, v14
	s_delay_alu instid0(VALU_DEP_2) | instskip(NEXT) | instid1(VALU_DEP_2)
	v_mul_hi_u32 v14, v3, v13
	v_mul_lo_u32 v15, v3, v12
	v_mul_hi_u32 v16, v3, v12
	v_mul_hi_u32 v31, v11, v13
	v_mul_lo_u32 v13, v11, v13
	v_mul_hi_u32 v32, v11, v12
	v_mul_lo_u32 v12, v11, v12
	v_add_co_u32 v14, vcc_lo, v14, v15
	v_add_co_ci_u32_e32 v15, vcc_lo, 0, v16, vcc_lo
	s_delay_alu instid0(VALU_DEP_2) | instskip(NEXT) | instid1(VALU_DEP_2)
	v_add_co_u32 v13, vcc_lo, v14, v13
	v_add_co_ci_u32_e32 v13, vcc_lo, v15, v31, vcc_lo
	v_add_co_ci_u32_e32 v14, vcc_lo, 0, v32, vcc_lo
	v_add_co_u32 v9, vcc_lo, v9, v30
	v_add_co_ci_u32_e32 v10, vcc_lo, v10, v30, vcc_lo
	s_delay_alu instid0(VALU_DEP_4) | instskip(NEXT) | instid1(VALU_DEP_4)
	v_add_co_u32 v12, vcc_lo, v13, v12
	v_add_co_ci_u32_e32 v13, vcc_lo, 0, v14, vcc_lo
	s_delay_alu instid0(VALU_DEP_4) | instskip(NEXT) | instid1(VALU_DEP_3)
	v_xor_b32_e32 v15, v9, v30
	v_add_co_u32 v3, vcc_lo, v3, v12
	s_delay_alu instid0(VALU_DEP_3) | instskip(SKIP_1) | instid1(VALU_DEP_3)
	v_add_co_ci_u32_e32 v16, vcc_lo, v11, v13, vcc_lo
	v_xor_b32_e32 v31, v10, v30
	v_mul_hi_u32 v32, v15, v3
	s_delay_alu instid0(VALU_DEP_3) | instskip(NEXT) | instid1(VALU_DEP_3)
	v_mad_u64_u32 v[9:10], null, v15, v16, 0
	v_mad_u64_u32 v[11:12], null, v31, v3, 0
	;; [unrolled: 1-line block ×3, first 2 shown]
	s_delay_alu instid0(VALU_DEP_3) | instskip(NEXT) | instid1(VALU_DEP_4)
	v_add_co_u32 v3, vcc_lo, v32, v9
	v_add_co_ci_u32_e32 v9, vcc_lo, 0, v10, vcc_lo
	s_delay_alu instid0(VALU_DEP_2) | instskip(NEXT) | instid1(VALU_DEP_2)
	v_add_co_u32 v3, vcc_lo, v3, v11
	v_add_co_ci_u32_e32 v3, vcc_lo, v9, v12, vcc_lo
	v_add_co_ci_u32_e32 v9, vcc_lo, 0, v14, vcc_lo
	s_delay_alu instid0(VALU_DEP_2) | instskip(NEXT) | instid1(VALU_DEP_2)
	v_add_co_u32 v3, vcc_lo, v3, v13
	v_add_co_ci_u32_e32 v11, vcc_lo, 0, v9, vcc_lo
	s_delay_alu instid0(VALU_DEP_2) | instskip(SKIP_1) | instid1(VALU_DEP_3)
	v_mul_lo_u32 v12, s11, v3
	v_mad_u64_u32 v[9:10], null, s10, v3, 0
	v_mul_lo_u32 v11, s10, v11
	s_delay_alu instid0(VALU_DEP_2) | instskip(NEXT) | instid1(VALU_DEP_2)
	v_sub_co_u32 v9, vcc_lo, v15, v9
	v_add3_u32 v10, v10, v11, v12
	v_add_co_u32 v12, s3, v3, 2
	s_delay_alu instid0(VALU_DEP_2) | instskip(NEXT) | instid1(VALU_DEP_1)
	v_sub_nc_u32_e32 v11, v31, v10
	v_subrev_co_ci_u32_e64 v11, s3, s11, v11, vcc_lo
	v_sub_co_u32 v13, s3, v9, s10
	v_sub_co_ci_u32_e32 v10, vcc_lo, v31, v10, vcc_lo
	s_delay_alu instid0(VALU_DEP_3) | instskip(NEXT) | instid1(VALU_DEP_3)
	v_subrev_co_ci_u32_e64 v11, s3, 0, v11, s3
	v_cmp_le_u32_e32 vcc_lo, s10, v13
	v_cndmask_b32_e64 v13, 0, -1, vcc_lo
	s_delay_alu instid0(VALU_DEP_3)
	v_cmp_le_u32_e32 vcc_lo, s11, v11
	v_cndmask_b32_e64 v14, 0, -1, vcc_lo
	v_cmp_le_u32_e32 vcc_lo, s10, v9
	v_cndmask_b32_e64 v9, 0, -1, vcc_lo
	;; [unrolled: 2-line block ×3, first 2 shown]
	v_cmp_eq_u32_e32 vcc_lo, s11, v11
	v_cndmask_b32_e32 v11, v14, v13, vcc_lo
	v_add_co_u32 v13, vcc_lo, v3, 1
	v_cmp_eq_u32_e32 vcc_lo, s11, v10
	v_cndmask_b32_e32 v9, v15, v9, vcc_lo
	s_delay_alu instid0(VALU_DEP_4) | instskip(NEXT) | instid1(VALU_DEP_4)
	v_cmp_ne_u32_e32 vcc_lo, 0, v11
	v_cndmask_b32_e32 v10, v13, v12, vcc_lo
	s_delay_alu instid0(VALU_DEP_3) | instskip(SKIP_1) | instid1(VALU_DEP_3)
	v_cmp_ne_u32_e32 vcc_lo, 0, v9
	v_xor_b32_e32 v9, s8, v30
	v_cndmask_b32_e32 v3, v3, v10, vcc_lo
	s_delay_alu instid0(VALU_DEP_1) | instskip(NEXT) | instid1(VALU_DEP_1)
	v_xor_b32_e32 v3, v3, v9
	v_sub_co_u32 v11, vcc_lo, v3, v9
                                        ; implicit-def: $vgpr9_vgpr10
.LBB13_20:                              ;   in Loop: Header=BB13_17 Depth=3
	s_and_not1_saveexec_b32 s3, s38
	s_cbranch_execz .LBB13_22
; %bb.21:                               ;   in Loop: Header=BB13_17 Depth=3
	v_cvt_f32_u32_e32 v3, s12
	s_sub_i32 s8, 0, s12
	s_delay_alu instid0(VALU_DEP_1) | instskip(SKIP_2) | instid1(VALU_DEP_1)
	v_rcp_iflag_f32_e32 v3, v3
	s_waitcnt_depctr 0xfff
	v_mul_f32_e32 v3, 0x4f7ffffe, v3
	v_cvt_u32_f32_e32 v3, v3
	s_delay_alu instid0(VALU_DEP_1) | instskip(NEXT) | instid1(VALU_DEP_1)
	v_mul_lo_u32 v10, s8, v3
	v_mul_hi_u32 v10, v3, v10
	s_delay_alu instid0(VALU_DEP_1) | instskip(NEXT) | instid1(VALU_DEP_1)
	v_add_nc_u32_e32 v3, v3, v10
	v_mul_hi_u32 v3, v9, v3
	s_delay_alu instid0(VALU_DEP_1) | instskip(NEXT) | instid1(VALU_DEP_1)
	v_mul_lo_u32 v10, v3, s12
	v_sub_nc_u32_e32 v9, v9, v10
	v_add_nc_u32_e32 v10, 1, v3
	s_delay_alu instid0(VALU_DEP_2) | instskip(SKIP_1) | instid1(VALU_DEP_2)
	v_subrev_nc_u32_e32 v11, s12, v9
	v_cmp_le_u32_e32 vcc_lo, s12, v9
	v_cndmask_b32_e32 v9, v9, v11, vcc_lo
	s_delay_alu instid0(VALU_DEP_4) | instskip(NEXT) | instid1(VALU_DEP_2)
	v_cndmask_b32_e32 v3, v3, v10, vcc_lo
	v_cmp_le_u32_e32 vcc_lo, s12, v9
	s_delay_alu instid0(VALU_DEP_2) | instskip(NEXT) | instid1(VALU_DEP_1)
	v_add_nc_u32_e32 v10, 1, v3
	v_cndmask_b32_e32 v11, v3, v10, vcc_lo
.LBB13_22:                              ;   in Loop: Header=BB13_17 Depth=3
	s_or_b32 exec_lo, exec_lo, s3
	global_load_b64 v[9:10], v[7:8], off
	v_sub_nc_u32_e32 v3, 0, v0
	v_not_b32_e32 v11, v11
	s_mov_b32 s38, 0
	s_delay_alu instid0(VALU_DEP_2) | instskip(NEXT) | instid1(VALU_DEP_1)
	v_max_i32_e32 v3, v0, v3
	v_mul_hi_u32 v12, v3, v20
	s_delay_alu instid0(VALU_DEP_1) | instskip(NEXT) | instid1(VALU_DEP_1)
	v_mul_lo_u32 v13, v12, s21
	v_sub_nc_u32_e32 v3, v3, v13
	v_add_nc_u32_e32 v13, 1, v12
	s_delay_alu instid0(VALU_DEP_2) | instskip(SKIP_1) | instid1(VALU_DEP_2)
	v_subrev_nc_u32_e32 v14, s21, v3
	v_cmp_le_u32_e32 vcc_lo, s21, v3
	v_dual_cndmask_b32 v12, v12, v13 :: v_dual_cndmask_b32 v3, v3, v14
	v_ashrrev_i32_e32 v13, 31, v0
	s_delay_alu instid0(VALU_DEP_2) | instskip(NEXT) | instid1(VALU_DEP_3)
	v_add_nc_u32_e32 v14, 1, v12
	v_cmp_le_u32_e32 vcc_lo, s21, v3
	s_delay_alu instid0(VALU_DEP_3) | instskip(NEXT) | instid1(VALU_DEP_3)
	v_xor_b32_e32 v13, s25, v13
	v_cndmask_b32_e32 v3, v12, v14, vcc_lo
	s_delay_alu instid0(VALU_DEP_1) | instskip(NEXT) | instid1(VALU_DEP_1)
	v_xor_b32_e32 v3, v3, v13
	v_sub_nc_u32_e32 v3, v3, v13
	s_delay_alu instid0(VALU_DEP_1) | instskip(SKIP_1) | instid1(VALU_DEP_2)
	v_mul_lo_u32 v12, v3, s6
	v_mul_lo_u32 v3, v3, s4
	v_sub_nc_u32_e32 v0, v0, v12
	s_delay_alu instid0(VALU_DEP_1) | instskip(NEXT) | instid1(VALU_DEP_1)
	v_mul_lo_u32 v0, v0, s4
	v_sub_nc_u32_e32 v12, 0, v0
	s_delay_alu instid0(VALU_DEP_1) | instskip(SKIP_1) | instid1(VALU_DEP_2)
	v_max_i32_e32 v12, v0, v12
	v_ashrrev_i32_e32 v0, 31, v0
	v_mul_hi_u32 v13, v12, v20
	s_delay_alu instid0(VALU_DEP_2) | instskip(NEXT) | instid1(VALU_DEP_2)
	v_xor_b32_e32 v0, s25, v0
	v_mul_lo_u32 v14, v13, s21
	s_delay_alu instid0(VALU_DEP_1) | instskip(SKIP_1) | instid1(VALU_DEP_2)
	v_sub_nc_u32_e32 v12, v12, v14
	v_add_nc_u32_e32 v14, 1, v13
	v_subrev_nc_u32_e32 v15, s21, v12
	v_cmp_le_u32_e32 vcc_lo, s21, v12
	s_delay_alu instid0(VALU_DEP_2) | instskip(NEXT) | instid1(VALU_DEP_1)
	v_dual_cndmask_b32 v13, v13, v14 :: v_dual_cndmask_b32 v12, v12, v15
	v_add_nc_u32_e32 v14, 1, v13
	s_delay_alu instid0(VALU_DEP_2) | instskip(NEXT) | instid1(VALU_DEP_2)
	v_cmp_le_u32_e32 vcc_lo, s21, v12
	v_cndmask_b32_e32 v12, v13, v14, vcc_lo
	s_delay_alu instid0(VALU_DEP_1) | instskip(NEXT) | instid1(VALU_DEP_1)
	v_xor_b32_e32 v12, v12, v0
	v_sub_nc_u32_e32 v0, v12, v0
	s_delay_alu instid0(VALU_DEP_1) | instskip(NEXT) | instid1(VALU_DEP_1)
	v_add3_u32 v0, v0, v3, v11
	v_cvt_f64_i32_e32 v[11:12], v0
	v_add_nc_u32_e32 v0, 1, v6
	s_delay_alu instid0(VALU_DEP_1)
	v_mad_i64_i32 v[13:14], null, s29, v0, -1
	v_mov_b32_e32 v0, v6
	s_branch .LBB13_24
.LBB13_23:                              ;   in Loop: Header=BB13_24 Depth=4
	s_or_b32 exec_lo, exec_lo, s3
	v_add_nc_u32_e32 v30, v28, v0
	v_sub_nc_u32_e32 v3, 0, v0
	v_not_b32_e32 v15, v15
	s_delay_alu instid0(VALU_DEP_3) | instskip(NEXT) | instid1(VALU_DEP_3)
	v_ashrrev_i32_e32 v31, 31, v30
	v_max_i32_e32 v3, v0, v3
	s_delay_alu instid0(VALU_DEP_2) | instskip(NEXT) | instid1(VALU_DEP_2)
	v_lshlrev_b64 v[30:31], 3, v[30:31]
	v_mul_hi_u32 v16, v3, v21
	s_delay_alu instid0(VALU_DEP_2) | instskip(NEXT) | instid1(VALU_DEP_3)
	v_add_co_u32 v30, vcc_lo, s14, v30
	v_add_co_ci_u32_e32 v31, vcc_lo, s15, v31, vcc_lo
	s_delay_alu instid0(VALU_DEP_3) | instskip(SKIP_4) | instid1(VALU_DEP_2)
	v_add_nc_u32_e32 v40, 1, v16
	global_load_b64 v[30:31], v[30:31], off
	s_waitcnt vmcnt(0)
	v_div_scale_f64 v[32:33], null, v[11:12], v[11:12], v[30:31]
	v_div_scale_f64 v[38:39], vcc_lo, v[30:31], v[11:12], v[30:31]
	v_rcp_f64_e32 v[34:35], v[32:33]
	s_waitcnt_depctr 0xfff
	v_fma_f64 v[36:37], -v[32:33], v[34:35], 1.0
	s_delay_alu instid0(VALU_DEP_1) | instskip(NEXT) | instid1(VALU_DEP_1)
	v_fma_f64 v[34:35], v[34:35], v[36:37], v[34:35]
	v_fma_f64 v[36:37], -v[32:33], v[34:35], 1.0
	s_delay_alu instid0(VALU_DEP_1) | instskip(SKIP_1) | instid1(VALU_DEP_1)
	v_fma_f64 v[34:35], v[34:35], v[36:37], v[34:35]
	v_mul_lo_u32 v36, v16, s22
	v_sub_nc_u32_e32 v3, v3, v36
	s_delay_alu instid0(VALU_DEP_1) | instskip(SKIP_1) | instid1(VALU_DEP_1)
	v_subrev_nc_u32_e32 v41, s22, v3
	v_cmp_le_u32_e64 s3, s22, v3
	v_cndmask_b32_e64 v16, v16, v40, s3
	s_delay_alu instid0(VALU_DEP_3) | instskip(SKIP_1) | instid1(VALU_DEP_3)
	v_cndmask_b32_e64 v3, v3, v41, s3
	v_ashrrev_i32_e32 v40, 31, v0
	v_add_nc_u32_e32 v41, 1, v16
	s_delay_alu instid0(VALU_DEP_3) | instskip(NEXT) | instid1(VALU_DEP_3)
	v_cmp_le_u32_e64 s3, s22, v3
	v_xor_b32_e32 v40, s27, v40
	s_delay_alu instid0(VALU_DEP_2) | instskip(SKIP_1) | instid1(VALU_DEP_1)
	v_cndmask_b32_e64 v3, v16, v41, s3
	v_add_co_u32 v13, s3, v13, s29
	v_add_co_ci_u32_e64 v14, s3, s28, v14, s3
	s_delay_alu instid0(VALU_DEP_3) | instskip(SKIP_1) | instid1(VALU_DEP_2)
	v_xor_b32_e32 v3, v3, v40
	v_mul_f64 v[36:37], v[38:39], v[34:35]
	v_sub_nc_u32_e32 v3, v3, v40
	s_delay_alu instid0(VALU_DEP_1) | instskip(SKIP_2) | instid1(VALU_DEP_3)
	v_mad_u64_u32 v[40:41], null, s31, v3, v[0:1]
	v_mul_lo_u32 v3, v3, s5
	v_add_nc_u32_e32 v0, 1, v0
	v_mul_lo_u32 v16, v40, s5
	v_fma_f64 v[32:33], -v[32:33], v[36:37], v[38:39]
	s_delay_alu instid0(VALU_DEP_2) | instskip(NEXT) | instid1(VALU_DEP_1)
	v_sub_nc_u32_e32 v38, 0, v16
	v_max_i32_e32 v38, v16, v38
	v_ashrrev_i32_e32 v16, 31, v16
	s_delay_alu instid0(VALU_DEP_2) | instskip(NEXT) | instid1(VALU_DEP_2)
	v_mul_hi_u32 v39, v38, v21
	v_xor_b32_e32 v16, s27, v16
	s_delay_alu instid0(VALU_DEP_2) | instskip(NEXT) | instid1(VALU_DEP_1)
	v_mul_lo_u32 v40, v39, s22
	v_sub_nc_u32_e32 v38, v38, v40
	v_div_fmas_f64 v[32:33], v[32:33], v[34:35], v[36:37]
	v_add_nc_u32_e32 v34, 1, v39
	s_delay_alu instid0(VALU_DEP_3) | instskip(SKIP_1) | instid1(VALU_DEP_2)
	v_subrev_nc_u32_e32 v35, s22, v38
	v_cmp_le_u32_e32 vcc_lo, s22, v38
	v_dual_cndmask_b32 v34, v39, v34 :: v_dual_cndmask_b32 v35, v38, v35
	s_delay_alu instid0(VALU_DEP_1) | instskip(NEXT) | instid1(VALU_DEP_2)
	v_add_nc_u32_e32 v36, 1, v34
	v_cmp_le_u32_e32 vcc_lo, s22, v35
	s_delay_alu instid0(VALU_DEP_2) | instskip(NEXT) | instid1(VALU_DEP_1)
	v_cndmask_b32_e32 v34, v34, v36, vcc_lo
	v_xor_b32_e32 v34, v34, v16
	s_delay_alu instid0(VALU_DEP_1) | instskip(NEXT) | instid1(VALU_DEP_1)
	v_sub_nc_u32_e32 v16, v34, v16
	v_add3_u32 v3, v16, v3, v15
	v_div_fixup_f64 v[30:31], v[32:33], v[11:12], v[30:31]
	s_delay_alu instid0(VALU_DEP_2) | instskip(NEXT) | instid1(VALU_DEP_1)
	v_cvt_f64_i32_e32 v[15:16], v3
	v_div_scale_f64 v[32:33], null, v[15:16], v[15:16], v[30:31]
	s_delay_alu instid0(VALU_DEP_1) | instskip(SKIP_2) | instid1(VALU_DEP_1)
	v_rcp_f64_e32 v[34:35], v[32:33]
	s_waitcnt_depctr 0xfff
	v_fma_f64 v[36:37], -v[32:33], v[34:35], 1.0
	v_fma_f64 v[34:35], v[34:35], v[36:37], v[34:35]
	s_delay_alu instid0(VALU_DEP_1) | instskip(NEXT) | instid1(VALU_DEP_1)
	v_fma_f64 v[36:37], -v[32:33], v[34:35], 1.0
	v_fma_f64 v[34:35], v[34:35], v[36:37], v[34:35]
	v_div_scale_f64 v[36:37], vcc_lo, v[30:31], v[15:16], v[30:31]
	s_delay_alu instid0(VALU_DEP_1) | instskip(NEXT) | instid1(VALU_DEP_1)
	v_mul_f64 v[38:39], v[36:37], v[34:35]
	v_fma_f64 v[32:33], -v[32:33], v[38:39], v[36:37]
	s_delay_alu instid0(VALU_DEP_1) | instskip(SKIP_2) | instid1(VALU_DEP_2)
	v_div_fmas_f64 v[32:33], v[32:33], v[34:35], v[38:39]
	v_cmp_ge_i32_e32 vcc_lo, v0, v27
	s_or_b32 s38, vcc_lo, s38
	v_div_fixup_f64 v[15:16], v[32:33], v[15:16], v[30:31]
	s_delay_alu instid0(VALU_DEP_1)
	v_add_f64 v[9:10], v[9:10], v[15:16]
	global_store_b64 v[7:8], v[9:10], off
	s_and_not1_b32 exec_lo, exec_lo, s38
	s_cbranch_execz .LBB13_16
.LBB13_24:                              ;   Parent Loop BB13_3 Depth=1
                                        ;     Parent Loop BB13_10 Depth=2
                                        ;       Parent Loop BB13_17 Depth=3
                                        ; =>      This Inner Loop Header: Depth=4
	s_delay_alu instid0(VALU_DEP_2) | instskip(SKIP_1) | instid1(VALU_DEP_1)
	v_or_b32_e32 v3, s27, v14
                                        ; implicit-def: $vgpr15_vgpr16
	s_mov_b32 s3, exec_lo
	v_cmpx_ne_u64_e32 0, v[2:3]
	s_xor_b32 s39, exec_lo, s3
	s_cbranch_execz .LBB13_26
; %bb.25:                               ;   in Loop: Header=BB13_24 Depth=4
	s_add_u32 s10, s16, s27
	s_mov_b32 s8, s27
	s_mov_b32 s9, s27
	s_addc_u32 s11, s27, s27
	s_delay_alu instid0(SALU_CYCLE_1) | instskip(NEXT) | instid1(SALU_CYCLE_1)
	s_xor_b64 s[10:11], s[10:11], s[8:9]
	v_cvt_f32_u32_e32 v3, s10
	v_cvt_f32_u32_e32 v15, s11
	s_sub_u32 s3, 0, s10
	s_subb_u32 s9, 0, s11
	s_delay_alu instid0(VALU_DEP_1) | instskip(NEXT) | instid1(VALU_DEP_1)
	v_fmac_f32_e32 v3, 0x4f800000, v15
	v_rcp_f32_e32 v3, v3
	s_waitcnt_depctr 0xfff
	v_mul_f32_e32 v3, 0x5f7ffffc, v3
	s_delay_alu instid0(VALU_DEP_1) | instskip(NEXT) | instid1(VALU_DEP_1)
	v_mul_f32_e32 v15, 0x2f800000, v3
	v_trunc_f32_e32 v15, v15
	s_delay_alu instid0(VALU_DEP_1) | instskip(SKIP_1) | instid1(VALU_DEP_2)
	v_fmac_f32_e32 v3, 0xcf800000, v15
	v_cvt_u32_f32_e32 v15, v15
	v_cvt_u32_f32_e32 v3, v3
	s_delay_alu instid0(VALU_DEP_2) | instskip(NEXT) | instid1(VALU_DEP_2)
	v_mul_lo_u32 v16, s3, v15
	v_mul_hi_u32 v30, s3, v3
	v_mul_lo_u32 v31, s9, v3
	s_delay_alu instid0(VALU_DEP_2) | instskip(SKIP_1) | instid1(VALU_DEP_2)
	v_add_nc_u32_e32 v16, v30, v16
	v_mul_lo_u32 v30, s3, v3
	v_add_nc_u32_e32 v16, v16, v31
	s_delay_alu instid0(VALU_DEP_2) | instskip(NEXT) | instid1(VALU_DEP_2)
	v_mul_hi_u32 v31, v3, v30
	v_mul_lo_u32 v32, v3, v16
	v_mul_hi_u32 v33, v3, v16
	v_mul_hi_u32 v34, v15, v30
	v_mul_lo_u32 v30, v15, v30
	v_mul_hi_u32 v35, v15, v16
	v_mul_lo_u32 v16, v15, v16
	v_add_co_u32 v31, vcc_lo, v31, v32
	v_add_co_ci_u32_e32 v32, vcc_lo, 0, v33, vcc_lo
	s_delay_alu instid0(VALU_DEP_2) | instskip(NEXT) | instid1(VALU_DEP_2)
	v_add_co_u32 v30, vcc_lo, v31, v30
	v_add_co_ci_u32_e32 v30, vcc_lo, v32, v34, vcc_lo
	v_add_co_ci_u32_e32 v31, vcc_lo, 0, v35, vcc_lo
	v_ashrrev_i32_e32 v34, 31, v14
	s_delay_alu instid0(VALU_DEP_3) | instskip(NEXT) | instid1(VALU_DEP_3)
	v_add_co_u32 v16, vcc_lo, v30, v16
	v_add_co_ci_u32_e32 v30, vcc_lo, 0, v31, vcc_lo
	s_delay_alu instid0(VALU_DEP_2) | instskip(NEXT) | instid1(VALU_DEP_2)
	v_add_co_u32 v3, vcc_lo, v3, v16
	v_add_co_ci_u32_e32 v15, vcc_lo, v15, v30, vcc_lo
	s_delay_alu instid0(VALU_DEP_2) | instskip(SKIP_1) | instid1(VALU_DEP_3)
	v_mul_hi_u32 v16, s3, v3
	v_mul_lo_u32 v31, s9, v3
	v_mul_lo_u32 v30, s3, v15
	s_delay_alu instid0(VALU_DEP_1) | instskip(SKIP_1) | instid1(VALU_DEP_2)
	v_add_nc_u32_e32 v16, v16, v30
	v_mul_lo_u32 v30, s3, v3
	v_add_nc_u32_e32 v16, v16, v31
	s_delay_alu instid0(VALU_DEP_2) | instskip(NEXT) | instid1(VALU_DEP_2)
	v_mul_hi_u32 v31, v3, v30
	v_mul_lo_u32 v32, v3, v16
	v_mul_hi_u32 v33, v3, v16
	v_mul_hi_u32 v35, v15, v30
	v_mul_lo_u32 v30, v15, v30
	v_mul_hi_u32 v36, v15, v16
	v_mul_lo_u32 v16, v15, v16
	v_add_co_u32 v31, vcc_lo, v31, v32
	v_add_co_ci_u32_e32 v32, vcc_lo, 0, v33, vcc_lo
	s_delay_alu instid0(VALU_DEP_2) | instskip(NEXT) | instid1(VALU_DEP_2)
	v_add_co_u32 v30, vcc_lo, v31, v30
	v_add_co_ci_u32_e32 v30, vcc_lo, v32, v35, vcc_lo
	v_add_co_ci_u32_e32 v31, vcc_lo, 0, v36, vcc_lo
	v_add_co_u32 v32, vcc_lo, v13, v34
	v_add_co_ci_u32_e32 v33, vcc_lo, v14, v34, vcc_lo
	s_delay_alu instid0(VALU_DEP_4) | instskip(NEXT) | instid1(VALU_DEP_4)
	v_add_co_u32 v16, vcc_lo, v30, v16
	v_add_co_ci_u32_e32 v30, vcc_lo, 0, v31, vcc_lo
	s_delay_alu instid0(VALU_DEP_4) | instskip(NEXT) | instid1(VALU_DEP_3)
	v_xor_b32_e32 v35, v32, v34
	v_add_co_u32 v3, vcc_lo, v3, v16
	s_delay_alu instid0(VALU_DEP_3) | instskip(SKIP_1) | instid1(VALU_DEP_3)
	v_add_co_ci_u32_e32 v36, vcc_lo, v15, v30, vcc_lo
	v_xor_b32_e32 v37, v33, v34
	v_mul_hi_u32 v38, v35, v3
	s_delay_alu instid0(VALU_DEP_3) | instskip(NEXT) | instid1(VALU_DEP_3)
	v_mad_u64_u32 v[15:16], null, v35, v36, 0
	v_mad_u64_u32 v[30:31], null, v37, v3, 0
	;; [unrolled: 1-line block ×3, first 2 shown]
	s_delay_alu instid0(VALU_DEP_3) | instskip(NEXT) | instid1(VALU_DEP_4)
	v_add_co_u32 v3, vcc_lo, v38, v15
	v_add_co_ci_u32_e32 v15, vcc_lo, 0, v16, vcc_lo
	s_delay_alu instid0(VALU_DEP_2) | instskip(NEXT) | instid1(VALU_DEP_2)
	v_add_co_u32 v3, vcc_lo, v3, v30
	v_add_co_ci_u32_e32 v3, vcc_lo, v15, v31, vcc_lo
	v_add_co_ci_u32_e32 v15, vcc_lo, 0, v33, vcc_lo
	s_delay_alu instid0(VALU_DEP_2) | instskip(NEXT) | instid1(VALU_DEP_2)
	v_add_co_u32 v3, vcc_lo, v3, v32
	v_add_co_ci_u32_e32 v30, vcc_lo, 0, v15, vcc_lo
	s_delay_alu instid0(VALU_DEP_2) | instskip(SKIP_1) | instid1(VALU_DEP_3)
	v_mul_lo_u32 v31, s11, v3
	v_mad_u64_u32 v[15:16], null, s10, v3, 0
	v_mul_lo_u32 v30, s10, v30
	s_delay_alu instid0(VALU_DEP_2) | instskip(NEXT) | instid1(VALU_DEP_2)
	v_sub_co_u32 v15, vcc_lo, v35, v15
	v_add3_u32 v16, v16, v30, v31
	v_add_co_u32 v31, s3, v3, 2
	s_delay_alu instid0(VALU_DEP_2) | instskip(NEXT) | instid1(VALU_DEP_1)
	v_sub_nc_u32_e32 v30, v37, v16
	v_subrev_co_ci_u32_e64 v30, s3, s11, v30, vcc_lo
	v_sub_co_u32 v32, s3, v15, s10
	v_sub_co_ci_u32_e32 v16, vcc_lo, v37, v16, vcc_lo
	s_delay_alu instid0(VALU_DEP_3) | instskip(NEXT) | instid1(VALU_DEP_3)
	v_subrev_co_ci_u32_e64 v30, s3, 0, v30, s3
	v_cmp_le_u32_e32 vcc_lo, s10, v32
	v_cndmask_b32_e64 v32, 0, -1, vcc_lo
	s_delay_alu instid0(VALU_DEP_3)
	v_cmp_le_u32_e32 vcc_lo, s11, v30
	v_cndmask_b32_e64 v33, 0, -1, vcc_lo
	v_cmp_le_u32_e32 vcc_lo, s10, v15
	v_cndmask_b32_e64 v15, 0, -1, vcc_lo
	;; [unrolled: 2-line block ×3, first 2 shown]
	v_cmp_eq_u32_e32 vcc_lo, s11, v30
	v_cndmask_b32_e32 v30, v33, v32, vcc_lo
	v_add_co_u32 v32, vcc_lo, v3, 1
	v_cmp_eq_u32_e32 vcc_lo, s11, v16
	v_cndmask_b32_e32 v15, v35, v15, vcc_lo
	s_delay_alu instid0(VALU_DEP_4) | instskip(NEXT) | instid1(VALU_DEP_4)
	v_cmp_ne_u32_e32 vcc_lo, 0, v30
	v_cndmask_b32_e32 v16, v32, v31, vcc_lo
	s_delay_alu instid0(VALU_DEP_3) | instskip(SKIP_1) | instid1(VALU_DEP_3)
	v_cmp_ne_u32_e32 vcc_lo, 0, v15
	v_xor_b32_e32 v15, s8, v34
	v_cndmask_b32_e32 v3, v3, v16, vcc_lo
	s_delay_alu instid0(VALU_DEP_1) | instskip(NEXT) | instid1(VALU_DEP_1)
	v_xor_b32_e32 v3, v3, v15
	v_sub_co_u32 v15, vcc_lo, v3, v15
.LBB13_26:                              ;   in Loop: Header=BB13_24 Depth=4
	s_and_not1_saveexec_b32 s3, s39
	s_cbranch_execz .LBB13_23
; %bb.27:                               ;   in Loop: Header=BB13_24 Depth=4
	v_cvt_f32_u32_e32 v3, s16
	s_sub_i32 s8, 0, s16
	s_delay_alu instid0(VALU_DEP_1) | instskip(SKIP_2) | instid1(VALU_DEP_1)
	v_rcp_iflag_f32_e32 v3, v3
	s_waitcnt_depctr 0xfff
	v_mul_f32_e32 v3, 0x4f7ffffe, v3
	v_cvt_u32_f32_e32 v3, v3
	s_delay_alu instid0(VALU_DEP_1) | instskip(NEXT) | instid1(VALU_DEP_1)
	v_mul_lo_u32 v15, s8, v3
	v_mul_hi_u32 v15, v3, v15
	s_delay_alu instid0(VALU_DEP_1) | instskip(NEXT) | instid1(VALU_DEP_1)
	v_add_nc_u32_e32 v3, v3, v15
	v_mul_hi_u32 v3, v13, v3
	s_delay_alu instid0(VALU_DEP_1) | instskip(NEXT) | instid1(VALU_DEP_1)
	v_mul_lo_u32 v15, v3, s16
	v_sub_nc_u32_e32 v15, v13, v15
	s_delay_alu instid0(VALU_DEP_1) | instskip(SKIP_1) | instid1(VALU_DEP_2)
	v_subrev_nc_u32_e32 v30, s16, v15
	v_cmp_le_u32_e32 vcc_lo, s16, v15
	v_dual_cndmask_b32 v15, v15, v30 :: v_dual_add_nc_u32 v16, 1, v3
	s_delay_alu instid0(VALU_DEP_1) | instskip(NEXT) | instid1(VALU_DEP_2)
	v_cndmask_b32_e32 v3, v3, v16, vcc_lo
	v_cmp_le_u32_e32 vcc_lo, s16, v15
	s_delay_alu instid0(VALU_DEP_2) | instskip(NEXT) | instid1(VALU_DEP_1)
	v_add_nc_u32_e32 v16, 1, v3
	v_cndmask_b32_e32 v15, v3, v16, vcc_lo
	s_branch .LBB13_23
.LBB13_28:
	s_nop 0
	s_sendmsg sendmsg(MSG_DEALLOC_VGPRS)
	s_endpgm
	.section	.rodata,"a",@progbits
	.p2align	6, 0x0
	.amdhsa_kernel _ZN2at6native12_GLOBAL__N_126adaptive_average_gradinputIdEEvPT_PKS3_iiii
		.amdhsa_group_segment_fixed_size 0
		.amdhsa_private_segment_fixed_size 0
		.amdhsa_kernarg_size 288
		.amdhsa_user_sgpr_count 14
		.amdhsa_user_sgpr_dispatch_ptr 0
		.amdhsa_user_sgpr_queue_ptr 0
		.amdhsa_user_sgpr_kernarg_segment_ptr 1
		.amdhsa_user_sgpr_dispatch_id 0
		.amdhsa_user_sgpr_private_segment_size 0
		.amdhsa_wavefront_size32 1
		.amdhsa_uses_dynamic_stack 0
		.amdhsa_enable_private_segment 0
		.amdhsa_system_sgpr_workgroup_id_x 1
		.amdhsa_system_sgpr_workgroup_id_y 1
		.amdhsa_system_sgpr_workgroup_id_z 0
		.amdhsa_system_sgpr_workgroup_info 0
		.amdhsa_system_vgpr_workitem_id 1
		.amdhsa_next_free_vgpr 42
		.amdhsa_next_free_sgpr 40
		.amdhsa_reserve_vcc 1
		.amdhsa_float_round_mode_32 0
		.amdhsa_float_round_mode_16_64 0
		.amdhsa_float_denorm_mode_32 3
		.amdhsa_float_denorm_mode_16_64 3
		.amdhsa_dx10_clamp 1
		.amdhsa_ieee_mode 1
		.amdhsa_fp16_overflow 0
		.amdhsa_workgroup_processor_mode 1
		.amdhsa_memory_ordered 1
		.amdhsa_forward_progress 0
		.amdhsa_shared_vgpr_count 0
		.amdhsa_exception_fp_ieee_invalid_op 0
		.amdhsa_exception_fp_denorm_src 0
		.amdhsa_exception_fp_ieee_div_zero 0
		.amdhsa_exception_fp_ieee_overflow 0
		.amdhsa_exception_fp_ieee_underflow 0
		.amdhsa_exception_fp_ieee_inexact 0
		.amdhsa_exception_int_div_zero 0
	.end_amdhsa_kernel
	.section	.text._ZN2at6native12_GLOBAL__N_126adaptive_average_gradinputIdEEvPT_PKS3_iiii,"axG",@progbits,_ZN2at6native12_GLOBAL__N_126adaptive_average_gradinputIdEEvPT_PKS3_iiii,comdat
.Lfunc_end13:
	.size	_ZN2at6native12_GLOBAL__N_126adaptive_average_gradinputIdEEvPT_PKS3_iiii, .Lfunc_end13-_ZN2at6native12_GLOBAL__N_126adaptive_average_gradinputIdEEvPT_PKS3_iiii
                                        ; -- End function
	.section	.AMDGPU.csdata,"",@progbits
; Kernel info:
; codeLenInByte = 5888
; NumSgprs: 42
; NumVgprs: 42
; ScratchSize: 0
; MemoryBound: 0
; FloatMode: 240
; IeeeMode: 1
; LDSByteSize: 0 bytes/workgroup (compile time only)
; SGPRBlocks: 5
; VGPRBlocks: 5
; NumSGPRsForWavesPerEU: 42
; NumVGPRsForWavesPerEU: 42
; Occupancy: 16
; WaveLimiterHint : 0
; COMPUTE_PGM_RSRC2:SCRATCH_EN: 0
; COMPUTE_PGM_RSRC2:USER_SGPR: 14
; COMPUTE_PGM_RSRC2:TRAP_HANDLER: 0
; COMPUTE_PGM_RSRC2:TGID_X_EN: 1
; COMPUTE_PGM_RSRC2:TGID_Y_EN: 1
; COMPUTE_PGM_RSRC2:TGID_Z_EN: 0
; COMPUTE_PGM_RSRC2:TIDIG_COMP_CNT: 1
	.section	.text._ZN2at6native12_GLOBAL__N_133atomic_adaptive_average_gradinputIfEEvPT_PKS3_iiii,"axG",@progbits,_ZN2at6native12_GLOBAL__N_133atomic_adaptive_average_gradinputIfEEvPT_PKS3_iiii,comdat
	.globl	_ZN2at6native12_GLOBAL__N_133atomic_adaptive_average_gradinputIfEEvPT_PKS3_iiii ; -- Begin function _ZN2at6native12_GLOBAL__N_133atomic_adaptive_average_gradinputIfEEvPT_PKS3_iiii
	.p2align	8
	.type	_ZN2at6native12_GLOBAL__N_133atomic_adaptive_average_gradinputIfEEvPT_PKS3_iiii,@function
_ZN2at6native12_GLOBAL__N_133atomic_adaptive_average_gradinputIfEEvPT_PKS3_iiii: ; @_ZN2at6native12_GLOBAL__N_133atomic_adaptive_average_gradinputIfEEvPT_PKS3_iiii
; %bb.0:
	s_clause 0x1
	s_load_b32 s10, s[0:1], 0x2c
	s_load_b128 s[4:7], s[0:1], 0x10
	v_bfe_u32 v3, v0, 10, 10
	s_add_u32 s8, s0, 32
	s_addc_u32 s9, s1, 0
	s_mov_b32 s2, exec_lo
	s_waitcnt lgkmcnt(0)
	s_lshr_b32 s11, s10, 16
	s_delay_alu instid0(SALU_CYCLE_1) | instskip(NEXT) | instid1(VALU_DEP_1)
	v_mad_u64_u32 v[1:2], null, s15, s11, v[3:4]
	v_cmpx_gt_i32_e64 s6, v1
	s_cbranch_execz .LBB14_22
; %bb.1:
	s_load_b128 s[0:3], s[0:1], 0x0
	s_mul_i32 s12, s14, s6
	s_mul_i32 s14, s14, s4
	;; [unrolled: 1-line block ×4, first 2 shown]
	s_ashr_i32 s13, s12, 31
	s_mov_b32 s18, s6
	s_lshl_b64 s[12:13], s[12:13], 2
	v_cvt_f32_u32_e32 v2, s18
	s_load_b32 s23, s[8:9], 0x4
	v_and_b32_e32 v0, 0x3ff, v0
	s_mov_b32 s8, s5
	s_mov_b32 s27, s7
	v_rcp_iflag_f32_e32 v2, v2
	s_mov_b32 s28, 0
	s_waitcnt lgkmcnt(0)
	s_add_u32 s16, s2, s12
	s_addc_u32 s17, s3, s13
	s_ashr_i32 s15, s14, 31
	s_delay_alu instid0(SALU_CYCLE_1) | instskip(NEXT) | instid1(SALU_CYCLE_1)
	s_lshl_b64 s[2:3], s[14:15], 2
	s_add_u32 s19, s0, s2
	s_addc_u32 s20, s1, s3
	s_abs_i32 s21, s6
	s_abs_i32 s22, s7
	v_cvt_f32_u32_e32 v3, s21
	v_cvt_f32_u32_e32 v4, s22
	s_sub_i32 s0, 0, s6
	s_sub_i32 s1, 0, s21
	s_sub_i32 s2, 0, s22
	v_rcp_iflag_f32_e32 v3, v3
	v_rcp_iflag_f32_e32 v4, v4
	v_mul_f32_e32 v2, 0x4f7ffffe, v2
	s_mul_i32 s23, s23, s11
	s_and_b32 s24, s10, 0xffff
	s_ashr_i32 s25, s6, 31
	s_ashr_i32 s9, s5, 31
	;; [unrolled: 1-line block ×3, first 2 shown]
	s_mov_b32 s11, 0
	s_waitcnt_depctr 0xfff
	v_dual_mul_f32 v3, 0x4f7ffffe, v3 :: v_dual_mul_f32 v4, 0x4f7ffffe, v4
	v_cvt_u32_f32_e32 v2, v2
	s_delay_alu instid0(VALU_DEP_2) | instskip(SKIP_1) | instid1(VALU_DEP_4)
	v_cvt_u32_f32_e32 v5, v3
	v_mov_b32_e32 v3, 0
	v_cvt_u32_f32_e32 v4, v4
	s_delay_alu instid0(VALU_DEP_4) | instskip(SKIP_2) | instid1(VALU_DEP_4)
	v_mul_lo_u32 v6, s0, v2
	v_cmp_gt_i32_e64 s0, s7, v0
	v_mul_lo_u32 v7, s1, v5
	v_mul_lo_u32 v8, s2, v4
	s_delay_alu instid0(VALU_DEP_4) | instskip(NEXT) | instid1(VALU_DEP_3)
	v_mul_hi_u32 v6, v2, v6
	v_mul_hi_u32 v7, v5, v7
	s_delay_alu instid0(VALU_DEP_3) | instskip(NEXT) | instid1(VALU_DEP_3)
	v_mul_hi_u32 v9, v4, v8
	v_add_nc_u32_e32 v10, v2, v6
	s_delay_alu instid0(VALU_DEP_3) | instskip(NEXT) | instid1(VALU_DEP_3)
	v_add_nc_u32_e32 v8, v5, v7
	v_add_nc_u32_e32 v9, v4, v9
	s_branch .LBB14_3
.LBB14_2:                               ;   in Loop: Header=BB14_3 Depth=1
	s_or_b32 exec_lo, exec_lo, s29
	v_add_nc_u32_e32 v1, s23, v1
	s_delay_alu instid0(VALU_DEP_1) | instskip(SKIP_1) | instid1(SALU_CYCLE_1)
	v_cmp_le_i32_e32 vcc_lo, s6, v1
	s_or_b32 s28, vcc_lo, s28
	s_and_not1_b32 exec_lo, exec_lo, s28
	s_cbranch_execz .LBB14_22
.LBB14_3:                               ; =>This Loop Header: Depth=1
                                        ;     Child Loop BB14_10 Depth 2
                                        ;       Child Loop BB14_17 Depth 3
                                        ;         Child Loop BB14_19 Depth 4
                                        ;           Child Loop BB14_20 Depth 5
	s_and_saveexec_b32 s29, s0
	s_cbranch_execz .LBB14_2
; %bb.4:                                ;   in Loop: Header=BB14_3 Depth=1
	v_add_nc_u32_e32 v2, 1, v1
	v_mov_b32_e32 v6, v3
	s_delay_alu instid0(VALU_DEP_2) | instskip(NEXT) | instid1(VALU_DEP_1)
	v_mad_i64_i32 v[4:5], null, v2, s4, -1
	v_or_b32_e32 v7, s25, v5
	s_delay_alu instid0(VALU_DEP_1) | instskip(SKIP_1) | instid1(SALU_CYCLE_1)
	v_cmp_ne_u64_e32 vcc_lo, 0, v[6:7]
                                        ; implicit-def: $vgpr6_vgpr7
	s_and_saveexec_b32 s1, vcc_lo
	s_xor_b32 s10, exec_lo, s1
	s_cbranch_execz .LBB14_6
; %bb.5:                                ;   in Loop: Header=BB14_3 Depth=1
	s_add_u32 s12, s18, s25
	s_mov_b32 s2, s25
	s_mov_b32 s3, s25
	s_addc_u32 s13, s25, s25
	s_delay_alu instid0(SALU_CYCLE_1) | instskip(NEXT) | instid1(SALU_CYCLE_1)
	s_xor_b64 s[12:13], s[12:13], s[2:3]
	v_cvt_f32_u32_e32 v2, s12
	v_cvt_f32_u32_e32 v6, s13
	s_sub_u32 s1, 0, s12
	s_subb_u32 s3, 0, s13
	s_delay_alu instid0(VALU_DEP_1) | instskip(NEXT) | instid1(VALU_DEP_1)
	v_fmac_f32_e32 v2, 0x4f800000, v6
	v_rcp_f32_e32 v2, v2
	s_waitcnt_depctr 0xfff
	v_mul_f32_e32 v2, 0x5f7ffffc, v2
	s_delay_alu instid0(VALU_DEP_1) | instskip(NEXT) | instid1(VALU_DEP_1)
	v_mul_f32_e32 v6, 0x2f800000, v2
	v_trunc_f32_e32 v6, v6
	s_delay_alu instid0(VALU_DEP_1) | instskip(SKIP_1) | instid1(VALU_DEP_2)
	v_fmac_f32_e32 v2, 0xcf800000, v6
	v_cvt_u32_f32_e32 v6, v6
	v_cvt_u32_f32_e32 v2, v2
	s_delay_alu instid0(VALU_DEP_2) | instskip(NEXT) | instid1(VALU_DEP_2)
	v_mul_lo_u32 v7, s1, v6
	v_mul_hi_u32 v11, s1, v2
	v_mul_lo_u32 v12, s3, v2
	s_delay_alu instid0(VALU_DEP_2) | instskip(SKIP_1) | instid1(VALU_DEP_2)
	v_add_nc_u32_e32 v7, v11, v7
	v_mul_lo_u32 v11, s1, v2
	v_add_nc_u32_e32 v7, v7, v12
	s_delay_alu instid0(VALU_DEP_2) | instskip(NEXT) | instid1(VALU_DEP_2)
	v_mul_hi_u32 v12, v2, v11
	v_mul_lo_u32 v13, v2, v7
	v_mul_hi_u32 v14, v2, v7
	v_mul_hi_u32 v15, v6, v11
	v_mul_lo_u32 v11, v6, v11
	v_mul_hi_u32 v16, v6, v7
	v_mul_lo_u32 v7, v6, v7
	v_add_co_u32 v12, vcc_lo, v12, v13
	v_add_co_ci_u32_e32 v13, vcc_lo, 0, v14, vcc_lo
	s_delay_alu instid0(VALU_DEP_2) | instskip(NEXT) | instid1(VALU_DEP_2)
	v_add_co_u32 v11, vcc_lo, v12, v11
	v_add_co_ci_u32_e32 v11, vcc_lo, v13, v15, vcc_lo
	v_add_co_ci_u32_e32 v12, vcc_lo, 0, v16, vcc_lo
	v_ashrrev_i32_e32 v15, 31, v5
	s_delay_alu instid0(VALU_DEP_3) | instskip(NEXT) | instid1(VALU_DEP_3)
	v_add_co_u32 v7, vcc_lo, v11, v7
	v_add_co_ci_u32_e32 v11, vcc_lo, 0, v12, vcc_lo
	s_delay_alu instid0(VALU_DEP_2) | instskip(NEXT) | instid1(VALU_DEP_2)
	v_add_co_u32 v2, vcc_lo, v2, v7
	v_add_co_ci_u32_e32 v6, vcc_lo, v6, v11, vcc_lo
	s_delay_alu instid0(VALU_DEP_2) | instskip(SKIP_1) | instid1(VALU_DEP_3)
	v_mul_hi_u32 v7, s1, v2
	v_mul_lo_u32 v12, s3, v2
	v_mul_lo_u32 v11, s1, v6
	s_delay_alu instid0(VALU_DEP_1) | instskip(SKIP_1) | instid1(VALU_DEP_2)
	v_add_nc_u32_e32 v7, v7, v11
	v_mul_lo_u32 v11, s1, v2
	v_add_nc_u32_e32 v7, v7, v12
	s_delay_alu instid0(VALU_DEP_2) | instskip(NEXT) | instid1(VALU_DEP_2)
	v_mul_hi_u32 v12, v2, v11
	v_mul_lo_u32 v13, v2, v7
	v_mul_hi_u32 v14, v2, v7
	v_mul_hi_u32 v16, v6, v11
	v_mul_lo_u32 v11, v6, v11
	v_mul_hi_u32 v17, v6, v7
	v_mul_lo_u32 v7, v6, v7
	v_add_co_u32 v12, vcc_lo, v12, v13
	v_add_co_ci_u32_e32 v13, vcc_lo, 0, v14, vcc_lo
	s_delay_alu instid0(VALU_DEP_2) | instskip(NEXT) | instid1(VALU_DEP_2)
	v_add_co_u32 v11, vcc_lo, v12, v11
	v_add_co_ci_u32_e32 v11, vcc_lo, v13, v16, vcc_lo
	v_add_co_ci_u32_e32 v12, vcc_lo, 0, v17, vcc_lo
	v_add_co_u32 v4, vcc_lo, v4, v15
	v_add_co_ci_u32_e32 v5, vcc_lo, v5, v15, vcc_lo
	s_delay_alu instid0(VALU_DEP_4) | instskip(NEXT) | instid1(VALU_DEP_4)
	v_add_co_u32 v7, vcc_lo, v11, v7
	v_add_co_ci_u32_e32 v11, vcc_lo, 0, v12, vcc_lo
	s_delay_alu instid0(VALU_DEP_4) | instskip(NEXT) | instid1(VALU_DEP_3)
	v_xor_b32_e32 v13, v4, v15
	v_add_co_u32 v2, vcc_lo, v2, v7
	s_delay_alu instid0(VALU_DEP_3) | instskip(SKIP_1) | instid1(VALU_DEP_3)
	v_add_co_ci_u32_e32 v14, vcc_lo, v6, v11, vcc_lo
	v_xor_b32_e32 v16, v5, v15
	v_mul_hi_u32 v17, v13, v2
	s_delay_alu instid0(VALU_DEP_3) | instskip(NEXT) | instid1(VALU_DEP_3)
	v_mad_u64_u32 v[4:5], null, v13, v14, 0
	v_mad_u64_u32 v[6:7], null, v16, v2, 0
	;; [unrolled: 1-line block ×3, first 2 shown]
	s_delay_alu instid0(VALU_DEP_3) | instskip(NEXT) | instid1(VALU_DEP_4)
	v_add_co_u32 v2, vcc_lo, v17, v4
	v_add_co_ci_u32_e32 v4, vcc_lo, 0, v5, vcc_lo
	s_delay_alu instid0(VALU_DEP_2) | instskip(NEXT) | instid1(VALU_DEP_2)
	v_add_co_u32 v2, vcc_lo, v2, v6
	v_add_co_ci_u32_e32 v2, vcc_lo, v4, v7, vcc_lo
	v_add_co_ci_u32_e32 v4, vcc_lo, 0, v12, vcc_lo
	s_delay_alu instid0(VALU_DEP_2) | instskip(NEXT) | instid1(VALU_DEP_2)
	v_add_co_u32 v2, vcc_lo, v2, v11
	v_add_co_ci_u32_e32 v6, vcc_lo, 0, v4, vcc_lo
	s_delay_alu instid0(VALU_DEP_2) | instskip(SKIP_1) | instid1(VALU_DEP_3)
	v_mul_lo_u32 v7, s13, v2
	v_mad_u64_u32 v[4:5], null, s12, v2, 0
	v_mul_lo_u32 v6, s12, v6
	s_delay_alu instid0(VALU_DEP_2) | instskip(NEXT) | instid1(VALU_DEP_2)
	v_sub_co_u32 v4, vcc_lo, v13, v4
	v_add3_u32 v5, v5, v6, v7
	v_add_co_u32 v7, s1, v2, 2
	s_delay_alu instid0(VALU_DEP_2) | instskip(NEXT) | instid1(VALU_DEP_1)
	v_sub_nc_u32_e32 v6, v16, v5
	v_subrev_co_ci_u32_e64 v6, s1, s13, v6, vcc_lo
	v_sub_co_u32 v11, s1, v4, s12
	v_sub_co_ci_u32_e32 v5, vcc_lo, v16, v5, vcc_lo
	s_delay_alu instid0(VALU_DEP_3) | instskip(NEXT) | instid1(VALU_DEP_3)
	v_subrev_co_ci_u32_e64 v6, s1, 0, v6, s1
	v_cmp_le_u32_e32 vcc_lo, s12, v11
	v_cndmask_b32_e64 v11, 0, -1, vcc_lo
	s_delay_alu instid0(VALU_DEP_3)
	v_cmp_le_u32_e32 vcc_lo, s13, v6
	v_cndmask_b32_e64 v12, 0, -1, vcc_lo
	v_cmp_le_u32_e32 vcc_lo, s12, v4
	v_cndmask_b32_e64 v4, 0, -1, vcc_lo
	;; [unrolled: 2-line block ×3, first 2 shown]
	v_cmp_eq_u32_e32 vcc_lo, s13, v6
	v_cndmask_b32_e32 v6, v12, v11, vcc_lo
	v_add_co_u32 v11, vcc_lo, v2, 1
	v_cmp_eq_u32_e32 vcc_lo, s13, v5
	v_cndmask_b32_e32 v4, v13, v4, vcc_lo
	s_delay_alu instid0(VALU_DEP_4) | instskip(NEXT) | instid1(VALU_DEP_4)
	v_cmp_ne_u32_e32 vcc_lo, 0, v6
	v_cndmask_b32_e32 v5, v11, v7, vcc_lo
	s_delay_alu instid0(VALU_DEP_3) | instskip(SKIP_1) | instid1(VALU_DEP_3)
	v_cmp_ne_u32_e32 vcc_lo, 0, v4
	v_xor_b32_e32 v4, s2, v15
	v_cndmask_b32_e32 v2, v2, v5, vcc_lo
	s_delay_alu instid0(VALU_DEP_1) | instskip(NEXT) | instid1(VALU_DEP_1)
	v_xor_b32_e32 v2, v2, v4
	v_sub_co_u32 v6, vcc_lo, v2, v4
                                        ; implicit-def: $vgpr4_vgpr5
.LBB14_6:                               ;   in Loop: Header=BB14_3 Depth=1
	s_and_not1_saveexec_b32 s1, s10
; %bb.7:                                ;   in Loop: Header=BB14_3 Depth=1
	s_delay_alu instid0(VALU_DEP_3) | instskip(NEXT) | instid1(VALU_DEP_1)
	v_mul_hi_u32 v2, v4, v10
	v_mul_lo_u32 v5, v2, s18
	s_delay_alu instid0(VALU_DEP_1) | instskip(SKIP_1) | instid1(VALU_DEP_2)
	v_sub_nc_u32_e32 v4, v4, v5
	v_add_nc_u32_e32 v5, 1, v2
	v_subrev_nc_u32_e32 v6, s18, v4
	v_cmp_le_u32_e32 vcc_lo, s18, v4
	s_delay_alu instid0(VALU_DEP_2) | instskip(NEXT) | instid1(VALU_DEP_4)
	v_cndmask_b32_e32 v4, v4, v6, vcc_lo
	v_cndmask_b32_e32 v2, v2, v5, vcc_lo
	s_delay_alu instid0(VALU_DEP_2) | instskip(NEXT) | instid1(VALU_DEP_2)
	v_cmp_le_u32_e32 vcc_lo, s18, v4
	v_add_nc_u32_e32 v5, 1, v2
	s_delay_alu instid0(VALU_DEP_1)
	v_cndmask_b32_e32 v6, v2, v5, vcc_lo
; %bb.8:                                ;   in Loop: Header=BB14_3 Depth=1
	s_or_b32 exec_lo, exec_lo, s1
	v_sub_nc_u32_e32 v2, 0, v1
	s_mov_b32 s30, 0
	s_delay_alu instid0(VALU_DEP_1) | instskip(NEXT) | instid1(VALU_DEP_1)
	v_max_i32_e32 v2, v1, v2
	v_mul_hi_u32 v4, v2, v8
	s_delay_alu instid0(VALU_DEP_1) | instskip(NEXT) | instid1(VALU_DEP_1)
	v_mul_lo_u32 v5, v4, s21
	v_sub_nc_u32_e32 v2, v2, v5
	s_delay_alu instid0(VALU_DEP_1) | instskip(SKIP_1) | instid1(VALU_DEP_2)
	v_subrev_nc_u32_e32 v7, s21, v2
	v_cmp_le_u32_e32 vcc_lo, s21, v2
	v_dual_cndmask_b32 v2, v2, v7 :: v_dual_add_nc_u32 v5, 1, v4
	s_delay_alu instid0(VALU_DEP_1) | instskip(SKIP_1) | instid1(VALU_DEP_3)
	v_cndmask_b32_e32 v4, v4, v5, vcc_lo
	v_ashrrev_i32_e32 v5, 31, v1
	v_cmp_le_u32_e32 vcc_lo, s21, v2
	s_delay_alu instid0(VALU_DEP_3) | instskip(NEXT) | instid1(VALU_DEP_3)
	v_add_nc_u32_e32 v7, 1, v4
	v_xor_b32_e32 v5, s25, v5
	s_delay_alu instid0(VALU_DEP_2) | instskip(NEXT) | instid1(VALU_DEP_1)
	v_cndmask_b32_e32 v2, v4, v7, vcc_lo
	v_xor_b32_e32 v2, v2, v5
	s_delay_alu instid0(VALU_DEP_1) | instskip(NEXT) | instid1(VALU_DEP_1)
	v_sub_nc_u32_e32 v7, v2, v5
	v_mul_lo_u32 v2, v7, s6
	s_delay_alu instid0(VALU_DEP_1) | instskip(NEXT) | instid1(VALU_DEP_1)
	v_sub_nc_u32_e32 v2, v1, v2
	v_mul_lo_u32 v2, v2, s4
	s_delay_alu instid0(VALU_DEP_1) | instskip(NEXT) | instid1(VALU_DEP_1)
	v_sub_nc_u32_e32 v4, 0, v2
	v_max_i32_e32 v4, v2, v4
	v_ashrrev_i32_e32 v2, 31, v2
	s_delay_alu instid0(VALU_DEP_2) | instskip(NEXT) | instid1(VALU_DEP_2)
	v_mul_hi_u32 v5, v4, v8
	v_xor_b32_e32 v2, s25, v2
	s_delay_alu instid0(VALU_DEP_2) | instskip(NEXT) | instid1(VALU_DEP_1)
	v_mul_lo_u32 v11, v5, s21
	v_sub_nc_u32_e32 v4, v4, v11
	v_add_nc_u32_e32 v11, 1, v5
	s_delay_alu instid0(VALU_DEP_2) | instskip(SKIP_1) | instid1(VALU_DEP_2)
	v_subrev_nc_u32_e32 v12, s21, v4
	v_cmp_le_u32_e32 vcc_lo, s21, v4
	v_dual_cndmask_b32 v5, v5, v11 :: v_dual_cndmask_b32 v4, v4, v12
	s_delay_alu instid0(VALU_DEP_1) | instskip(NEXT) | instid1(VALU_DEP_2)
	v_add_nc_u32_e32 v11, 1, v5
	v_cmp_le_u32_e32 vcc_lo, s21, v4
	s_delay_alu instid0(VALU_DEP_2) | instskip(SKIP_1) | instid1(VALU_DEP_2)
	v_cndmask_b32_e32 v4, v5, v11, vcc_lo
	v_mul_lo_u32 v11, v1, s7
	v_xor_b32_e32 v4, v4, v2
	s_delay_alu instid0(VALU_DEP_2) | instskip(NEXT) | instid1(VALU_DEP_2)
	v_ashrrev_i32_e32 v12, 31, v11
	v_sub_nc_u32_e32 v2, v4, v2
	s_delay_alu instid0(VALU_DEP_2) | instskip(NEXT) | instid1(VALU_DEP_2)
	v_lshlrev_b64 v[11:12], 2, v[11:12]
	v_mad_u64_u32 v[4:5], null, v7, s4, v[2:3]
	s_delay_alu instid0(VALU_DEP_2) | instskip(NEXT) | instid1(VALU_DEP_3)
	v_add_co_u32 v11, vcc_lo, s16, v11
	v_add_co_ci_u32_e32 v12, vcc_lo, s17, v12, vcc_lo
	s_delay_alu instid0(VALU_DEP_3) | instskip(SKIP_1) | instid1(VALU_DEP_1)
	v_mul_lo_u32 v5, v4, s5
	v_sub_nc_u32_e32 v2, v6, v4
	v_add_nc_u32_e32 v7, 1, v2
	v_cmp_gt_u32_e64 s1, 0x7fffffff, v2
	v_mov_b32_e32 v2, v0
	v_ashrrev_i32_e32 v6, 31, v5
	s_delay_alu instid0(VALU_DEP_4) | instskip(SKIP_1) | instid1(VALU_DEP_3)
	v_cvt_f32_i32_e32 v13, v7
	v_max_i32_e32 v14, 1, v7
	v_lshlrev_b64 v[4:5], 2, v[5:6]
	s_delay_alu instid0(VALU_DEP_1) | instskip(NEXT) | instid1(VALU_DEP_2)
	v_add_co_u32 v15, vcc_lo, s19, v4
	v_add_co_ci_u32_e32 v16, vcc_lo, s20, v5, vcc_lo
	s_branch .LBB14_10
.LBB14_9:                               ;   in Loop: Header=BB14_10 Depth=2
	s_set_inst_prefetch_distance 0x2
	s_or_b32 exec_lo, exec_lo, s12
	v_add_nc_u32_e32 v2, s24, v2
	s_delay_alu instid0(VALU_DEP_1) | instskip(SKIP_1) | instid1(SALU_CYCLE_1)
	v_cmp_le_i32_e32 vcc_lo, s7, v2
	s_or_b32 s30, vcc_lo, s30
	s_and_not1_b32 exec_lo, exec_lo, s30
	s_cbranch_execz .LBB14_2
.LBB14_10:                              ;   Parent Loop BB14_3 Depth=1
                                        ; =>  This Loop Header: Depth=2
                                        ;       Child Loop BB14_17 Depth 3
                                        ;         Child Loop BB14_19 Depth 4
                                        ;           Child Loop BB14_20 Depth 5
	v_add_nc_u32_e32 v17, 1, v2
	s_delay_alu instid0(VALU_DEP_1) | instskip(NEXT) | instid1(VALU_DEP_1)
	v_mad_u64_u32 v[4:5], null, v17, s8, -1
	v_mad_u64_u32 v[6:7], null, v17, s9, v[5:6]
	s_delay_alu instid0(VALU_DEP_1) | instskip(NEXT) | instid1(VALU_DEP_1)
	v_dual_mov_b32 v5, v6 :: v_dual_mov_b32 v6, v3
	v_or_b32_e32 v7, s26, v5
	s_delay_alu instid0(VALU_DEP_1) | instskip(SKIP_1) | instid1(SALU_CYCLE_1)
	v_cmp_ne_u64_e32 vcc_lo, 0, v[6:7]
                                        ; implicit-def: $vgpr6_vgpr7
	s_and_saveexec_b32 s2, vcc_lo
	s_xor_b32 s3, exec_lo, s2
	s_cbranch_execnz .LBB14_13
; %bb.11:                               ;   in Loop: Header=BB14_10 Depth=2
	s_and_not1_saveexec_b32 s2, s3
	s_cbranch_execnz .LBB14_14
.LBB14_12:                              ;   in Loop: Header=BB14_10 Depth=2
	s_or_b32 exec_lo, exec_lo, s2
	s_and_saveexec_b32 s12, s1
	s_cbranch_execz .LBB14_9
	s_branch .LBB14_15
.LBB14_13:                              ;   in Loop: Header=BB14_10 Depth=2
	s_add_u32 s14, s27, s26
	s_mov_b32 s12, s26
	s_mov_b32 s13, s26
	s_addc_u32 s15, s26, s26
	s_delay_alu instid0(SALU_CYCLE_1) | instskip(NEXT) | instid1(SALU_CYCLE_1)
	s_xor_b64 s[14:15], s[14:15], s[12:13]
	v_cvt_f32_u32_e32 v6, s14
	v_cvt_f32_u32_e32 v7, s15
	s_sub_u32 s2, 0, s14
	s_subb_u32 s10, 0, s15
	s_delay_alu instid0(VALU_DEP_1) | instskip(NEXT) | instid1(VALU_DEP_1)
	v_fmac_f32_e32 v6, 0x4f800000, v7
	v_rcp_f32_e32 v6, v6
	s_waitcnt_depctr 0xfff
	v_mul_f32_e32 v6, 0x5f7ffffc, v6
	s_delay_alu instid0(VALU_DEP_1) | instskip(NEXT) | instid1(VALU_DEP_1)
	v_mul_f32_e32 v7, 0x2f800000, v6
	v_trunc_f32_e32 v7, v7
	s_delay_alu instid0(VALU_DEP_1) | instskip(SKIP_1) | instid1(VALU_DEP_2)
	v_fmac_f32_e32 v6, 0xcf800000, v7
	v_cvt_u32_f32_e32 v7, v7
	v_cvt_u32_f32_e32 v6, v6
	s_delay_alu instid0(VALU_DEP_2) | instskip(NEXT) | instid1(VALU_DEP_2)
	v_mul_lo_u32 v17, s2, v7
	v_mul_hi_u32 v18, s2, v6
	v_mul_lo_u32 v19, s10, v6
	s_delay_alu instid0(VALU_DEP_2) | instskip(SKIP_1) | instid1(VALU_DEP_2)
	v_add_nc_u32_e32 v17, v18, v17
	v_mul_lo_u32 v18, s2, v6
	v_add_nc_u32_e32 v17, v17, v19
	s_delay_alu instid0(VALU_DEP_2) | instskip(NEXT) | instid1(VALU_DEP_2)
	v_mul_hi_u32 v19, v6, v18
	v_mul_lo_u32 v20, v6, v17
	v_mul_hi_u32 v21, v6, v17
	v_mul_hi_u32 v22, v7, v18
	v_mul_lo_u32 v18, v7, v18
	v_mul_hi_u32 v23, v7, v17
	v_mul_lo_u32 v17, v7, v17
	v_add_co_u32 v19, vcc_lo, v19, v20
	v_add_co_ci_u32_e32 v20, vcc_lo, 0, v21, vcc_lo
	s_delay_alu instid0(VALU_DEP_2) | instskip(NEXT) | instid1(VALU_DEP_2)
	v_add_co_u32 v18, vcc_lo, v19, v18
	v_add_co_ci_u32_e32 v18, vcc_lo, v20, v22, vcc_lo
	v_add_co_ci_u32_e32 v19, vcc_lo, 0, v23, vcc_lo
	v_ashrrev_i32_e32 v22, 31, v5
	s_delay_alu instid0(VALU_DEP_3) | instskip(NEXT) | instid1(VALU_DEP_3)
	v_add_co_u32 v17, vcc_lo, v18, v17
	v_add_co_ci_u32_e32 v18, vcc_lo, 0, v19, vcc_lo
	s_delay_alu instid0(VALU_DEP_2) | instskip(NEXT) | instid1(VALU_DEP_2)
	v_add_co_u32 v6, vcc_lo, v6, v17
	v_add_co_ci_u32_e32 v7, vcc_lo, v7, v18, vcc_lo
	s_delay_alu instid0(VALU_DEP_2) | instskip(SKIP_1) | instid1(VALU_DEP_3)
	v_mul_hi_u32 v17, s2, v6
	v_mul_lo_u32 v19, s10, v6
	v_mul_lo_u32 v18, s2, v7
	s_delay_alu instid0(VALU_DEP_1) | instskip(SKIP_1) | instid1(VALU_DEP_2)
	v_add_nc_u32_e32 v17, v17, v18
	v_mul_lo_u32 v18, s2, v6
	v_add_nc_u32_e32 v17, v17, v19
	s_delay_alu instid0(VALU_DEP_2) | instskip(NEXT) | instid1(VALU_DEP_2)
	v_mul_hi_u32 v19, v6, v18
	v_mul_lo_u32 v20, v6, v17
	v_mul_hi_u32 v21, v6, v17
	v_mul_hi_u32 v23, v7, v18
	v_mul_lo_u32 v18, v7, v18
	v_mul_hi_u32 v24, v7, v17
	v_mul_lo_u32 v17, v7, v17
	v_add_co_u32 v19, vcc_lo, v19, v20
	v_add_co_ci_u32_e32 v20, vcc_lo, 0, v21, vcc_lo
	s_delay_alu instid0(VALU_DEP_2) | instskip(NEXT) | instid1(VALU_DEP_2)
	v_add_co_u32 v18, vcc_lo, v19, v18
	v_add_co_ci_u32_e32 v18, vcc_lo, v20, v23, vcc_lo
	v_add_co_ci_u32_e32 v19, vcc_lo, 0, v24, vcc_lo
	v_add_co_u32 v4, vcc_lo, v4, v22
	v_add_co_ci_u32_e32 v5, vcc_lo, v5, v22, vcc_lo
	s_delay_alu instid0(VALU_DEP_4) | instskip(NEXT) | instid1(VALU_DEP_4)
	v_add_co_u32 v17, vcc_lo, v18, v17
	v_add_co_ci_u32_e32 v18, vcc_lo, 0, v19, vcc_lo
	s_delay_alu instid0(VALU_DEP_4) | instskip(NEXT) | instid1(VALU_DEP_3)
	v_xor_b32_e32 v19, v4, v22
	v_add_co_u32 v17, vcc_lo, v6, v17
	s_delay_alu instid0(VALU_DEP_3) | instskip(SKIP_1) | instid1(VALU_DEP_3)
	v_add_co_ci_u32_e32 v20, vcc_lo, v7, v18, vcc_lo
	v_xor_b32_e32 v21, v5, v22
	v_mul_hi_u32 v23, v19, v17
	s_delay_alu instid0(VALU_DEP_3) | instskip(NEXT) | instid1(VALU_DEP_3)
	v_mad_u64_u32 v[4:5], null, v19, v20, 0
	v_mad_u64_u32 v[6:7], null, v21, v17, 0
	;; [unrolled: 1-line block ×3, first 2 shown]
	s_delay_alu instid0(VALU_DEP_3) | instskip(NEXT) | instid1(VALU_DEP_4)
	v_add_co_u32 v4, vcc_lo, v23, v4
	v_add_co_ci_u32_e32 v5, vcc_lo, 0, v5, vcc_lo
	s_delay_alu instid0(VALU_DEP_2) | instskip(NEXT) | instid1(VALU_DEP_2)
	v_add_co_u32 v4, vcc_lo, v4, v6
	v_add_co_ci_u32_e32 v4, vcc_lo, v5, v7, vcc_lo
	v_add_co_ci_u32_e32 v5, vcc_lo, 0, v18, vcc_lo
	s_delay_alu instid0(VALU_DEP_2) | instskip(NEXT) | instid1(VALU_DEP_2)
	v_add_co_u32 v6, vcc_lo, v4, v17
	v_add_co_ci_u32_e32 v7, vcc_lo, 0, v5, vcc_lo
	s_delay_alu instid0(VALU_DEP_2) | instskip(SKIP_1) | instid1(VALU_DEP_3)
	v_mul_lo_u32 v17, s15, v6
	v_mad_u64_u32 v[4:5], null, s14, v6, 0
	v_mul_lo_u32 v7, s14, v7
	s_delay_alu instid0(VALU_DEP_2) | instskip(NEXT) | instid1(VALU_DEP_2)
	v_sub_co_u32 v4, vcc_lo, v19, v4
	v_add3_u32 v5, v5, v7, v17
	v_add_co_u32 v17, s2, v6, 2
	s_delay_alu instid0(VALU_DEP_2) | instskip(NEXT) | instid1(VALU_DEP_1)
	v_sub_nc_u32_e32 v7, v21, v5
	v_subrev_co_ci_u32_e64 v7, s2, s15, v7, vcc_lo
	v_sub_co_u32 v18, s2, v4, s14
	v_sub_co_ci_u32_e32 v5, vcc_lo, v21, v5, vcc_lo
	s_delay_alu instid0(VALU_DEP_3) | instskip(NEXT) | instid1(VALU_DEP_3)
	v_subrev_co_ci_u32_e64 v7, s2, 0, v7, s2
	v_cmp_le_u32_e32 vcc_lo, s14, v18
	v_cndmask_b32_e64 v18, 0, -1, vcc_lo
	s_delay_alu instid0(VALU_DEP_3)
	v_cmp_le_u32_e32 vcc_lo, s15, v7
	v_cndmask_b32_e64 v19, 0, -1, vcc_lo
	v_cmp_le_u32_e32 vcc_lo, s14, v4
	v_cndmask_b32_e64 v4, 0, -1, vcc_lo
	;; [unrolled: 2-line block ×3, first 2 shown]
	v_cmp_eq_u32_e32 vcc_lo, s15, v7
	v_cndmask_b32_e32 v7, v19, v18, vcc_lo
	v_add_co_u32 v18, vcc_lo, v6, 1
	v_cmp_eq_u32_e32 vcc_lo, s15, v5
	v_cndmask_b32_e32 v4, v20, v4, vcc_lo
	s_delay_alu instid0(VALU_DEP_4) | instskip(NEXT) | instid1(VALU_DEP_4)
	v_cmp_ne_u32_e32 vcc_lo, 0, v7
	v_cndmask_b32_e32 v5, v18, v17, vcc_lo
	s_delay_alu instid0(VALU_DEP_3) | instskip(NEXT) | instid1(VALU_DEP_2)
	v_cmp_ne_u32_e32 vcc_lo, 0, v4
	v_cndmask_b32_e32 v4, v6, v5, vcc_lo
	v_xor_b32_e32 v5, s12, v22
	s_delay_alu instid0(VALU_DEP_1) | instskip(NEXT) | instid1(VALU_DEP_1)
	v_xor_b32_e32 v4, v4, v5
	v_sub_co_u32 v6, vcc_lo, v4, v5
                                        ; implicit-def: $vgpr4_vgpr5
	s_and_not1_saveexec_b32 s2, s3
	s_cbranch_execz .LBB14_12
.LBB14_14:                              ;   in Loop: Header=BB14_10 Depth=2
	v_cvt_f32_u32_e32 v5, s27
	s_sub_i32 s3, 0, s27
	s_delay_alu instid0(VALU_DEP_1) | instskip(SKIP_2) | instid1(VALU_DEP_1)
	v_rcp_iflag_f32_e32 v5, v5
	s_waitcnt_depctr 0xfff
	v_mul_f32_e32 v5, 0x4f7ffffe, v5
	v_cvt_u32_f32_e32 v5, v5
	s_delay_alu instid0(VALU_DEP_1) | instskip(NEXT) | instid1(VALU_DEP_1)
	v_mul_lo_u32 v6, s3, v5
	v_mul_hi_u32 v6, v5, v6
	s_delay_alu instid0(VALU_DEP_1) | instskip(NEXT) | instid1(VALU_DEP_1)
	v_add_nc_u32_e32 v5, v5, v6
	v_mul_hi_u32 v5, v4, v5
	s_delay_alu instid0(VALU_DEP_1) | instskip(NEXT) | instid1(VALU_DEP_1)
	v_mul_lo_u32 v6, v5, s27
	v_sub_nc_u32_e32 v4, v4, v6
	v_add_nc_u32_e32 v6, 1, v5
	s_delay_alu instid0(VALU_DEP_2) | instskip(SKIP_1) | instid1(VALU_DEP_2)
	v_subrev_nc_u32_e32 v7, s27, v4
	v_cmp_le_u32_e32 vcc_lo, s27, v4
	v_dual_cndmask_b32 v4, v4, v7 :: v_dual_cndmask_b32 v5, v5, v6
	s_delay_alu instid0(VALU_DEP_1) | instskip(NEXT) | instid1(VALU_DEP_2)
	v_cmp_le_u32_e32 vcc_lo, s27, v4
	v_add_nc_u32_e32 v6, 1, v5
	s_delay_alu instid0(VALU_DEP_1)
	v_cndmask_b32_e32 v6, v5, v6, vcc_lo
	s_or_b32 exec_lo, exec_lo, s2
	s_and_saveexec_b32 s12, s1
	s_cbranch_execz .LBB14_9
.LBB14_15:                              ;   in Loop: Header=BB14_10 Depth=2
	v_lshlrev_b64 v[4:5], 2, v[2:3]
	v_mul_hi_u32 v17, v2, v9
	s_mov_b32 s13, 0
	s_mov_b32 s14, 0
	s_delay_alu instid0(VALU_DEP_2) | instskip(NEXT) | instid1(VALU_DEP_3)
	v_add_co_u32 v4, vcc_lo, v11, v4
	v_add_co_ci_u32_e32 v5, vcc_lo, v12, v5, vcc_lo
	s_delay_alu instid0(VALU_DEP_3) | instskip(SKIP_4) | instid1(VALU_DEP_2)
	v_mul_lo_u32 v19, v17, s22
	v_add_nc_u32_e32 v21, 1, v17
	global_load_b32 v5, v[4:5], off
	v_mul_lo_u32 v4, v2, s5
	v_sub_nc_u32_e32 v19, v2, v19
	v_sub_nc_u32_e32 v7, 0, v4
	s_delay_alu instid0(VALU_DEP_2) | instskip(NEXT) | instid1(VALU_DEP_2)
	v_cmp_le_u32_e32 vcc_lo, s22, v19
	v_max_i32_e32 v7, v4, v7
	v_ashrrev_i32_e32 v4, 31, v4
	v_cndmask_b32_e32 v17, v17, v21, vcc_lo
	v_subrev_nc_u32_e32 v21, s22, v19
	s_delay_alu instid0(VALU_DEP_4) | instskip(NEXT) | instid1(VALU_DEP_4)
	v_mul_hi_u32 v18, v7, v9
	v_xor_b32_e32 v4, s26, v4
	s_delay_alu instid0(VALU_DEP_3) | instskip(NEXT) | instid1(VALU_DEP_3)
	v_cndmask_b32_e32 v19, v19, v21, vcc_lo
	v_mul_lo_u32 v20, v18, s22
	s_delay_alu instid0(VALU_DEP_2) | instskip(NEXT) | instid1(VALU_DEP_2)
	v_cmp_le_u32_e32 vcc_lo, s22, v19
	v_sub_nc_u32_e32 v7, v7, v20
	v_add_nc_u32_e32 v20, 1, v18
	s_delay_alu instid0(VALU_DEP_2) | instskip(SKIP_1) | instid1(VALU_DEP_1)
	v_subrev_nc_u32_e32 v22, s22, v7
	v_cmp_le_u32_e64 s2, s22, v7
	v_cndmask_b32_e64 v18, v18, v20, s2
	v_add_nc_u32_e32 v20, 1, v17
	s_delay_alu instid0(VALU_DEP_4) | instskip(NEXT) | instid1(VALU_DEP_3)
	v_cndmask_b32_e64 v7, v7, v22, s2
	v_add_nc_u32_e32 v21, 1, v18
	s_delay_alu instid0(VALU_DEP_3) | instskip(NEXT) | instid1(VALU_DEP_3)
	v_cndmask_b32_e32 v17, v17, v20, vcc_lo
	v_cmp_le_u32_e32 vcc_lo, s22, v7
	s_delay_alu instid0(VALU_DEP_2) | instskip(NEXT) | instid1(VALU_DEP_4)
	v_xor_b32_e32 v17, s26, v17
	v_cndmask_b32_e32 v7, v18, v21, vcc_lo
	s_delay_alu instid0(VALU_DEP_2) | instskip(NEXT) | instid1(VALU_DEP_2)
	v_subrev_nc_u32_e32 v19, s26, v17
	v_xor_b32_e32 v7, v7, v4
	s_delay_alu instid0(VALU_DEP_1) | instskip(SKIP_1) | instid1(VALU_DEP_1)
	v_sub_nc_u32_e32 v4, v7, v4
	s_waitcnt vmcnt(0)
	v_mad_u64_u32 v[17:18], null, v19, s5, v[4:5]
	s_delay_alu instid0(VALU_DEP_1) | instskip(NEXT) | instid1(VALU_DEP_1)
	v_sub_nc_u32_e32 v6, v6, v17
	v_add_nc_u32_e32 v7, 1, v6
	v_cmp_gt_u32_e64 s2, 0x7fffffff, v6
	s_delay_alu instid0(VALU_DEP_2) | instskip(NEXT) | instid1(VALU_DEP_1)
	v_cvt_f32_i32_e32 v4, v7
	v_div_scale_f32 v18, null, v4, v4, v5
	v_div_scale_f32 v21, vcc_lo, v5, v4, v5
	s_delay_alu instid0(VALU_DEP_2) | instskip(SKIP_2) | instid1(VALU_DEP_1)
	v_rcp_f32_e32 v19, v18
	s_waitcnt_depctr 0xfff
	v_fma_f32 v20, -v18, v19, 1.0
	v_fmac_f32_e32 v19, v20, v19
	s_delay_alu instid0(VALU_DEP_1) | instskip(NEXT) | instid1(VALU_DEP_1)
	v_mul_f32_e32 v20, v21, v19
	v_fma_f32 v22, -v18, v20, v21
	s_delay_alu instid0(VALU_DEP_1) | instskip(NEXT) | instid1(VALU_DEP_1)
	v_fmac_f32_e32 v20, v22, v19
	v_fma_f32 v18, -v18, v20, v21
	s_delay_alu instid0(VALU_DEP_1) | instskip(NEXT) | instid1(VALU_DEP_1)
	v_div_fmas_f32 v18, v18, v19, v20
	v_div_fixup_f32 v19, v18, v4, v5
	v_ashrrev_i32_e32 v18, 31, v17
	s_delay_alu instid0(VALU_DEP_2) | instskip(SKIP_1) | instid1(VALU_DEP_2)
	v_div_scale_f32 v4, null, v13, v13, v19
	v_div_scale_f32 v21, vcc_lo, v19, v13, v19
	v_rcp_f32_e32 v20, v4
	s_waitcnt_depctr 0xfff
	v_fma_f32 v5, -v4, v20, 1.0
	s_delay_alu instid0(VALU_DEP_1) | instskip(NEXT) | instid1(VALU_DEP_1)
	v_fmac_f32_e32 v20, v5, v20
	v_mul_f32_e32 v22, v21, v20
	s_delay_alu instid0(VALU_DEP_1) | instskip(NEXT) | instid1(VALU_DEP_1)
	v_fma_f32 v5, -v4, v22, v21
	v_fmac_f32_e32 v22, v5, v20
	s_delay_alu instid0(VALU_DEP_1) | instskip(SKIP_1) | instid1(VALU_DEP_2)
	v_fma_f32 v21, -v4, v22, v21
	v_lshlrev_b64 v[4:5], 2, v[17:18]
	v_div_fmas_f32 v6, v21, v20, v22
	v_max_i32_e32 v20, 1, v7
	s_delay_alu instid0(VALU_DEP_3) | instskip(NEXT) | instid1(VALU_DEP_4)
	v_add_co_u32 v17, vcc_lo, v15, v4
	v_add_co_ci_u32_e32 v18, vcc_lo, v16, v5, vcc_lo
	s_delay_alu instid0(VALU_DEP_4)
	v_div_fixup_f32 v19, v6, v13, v19
	s_set_inst_prefetch_distance 0x1
	s_branch .LBB14_17
	.p2align	6
.LBB14_16:                              ;   in Loop: Header=BB14_17 Depth=3
	s_or_b32 exec_lo, exec_lo, s3
	s_add_i32 s14, s14, 1
	s_lshl_b64 s[34:35], s[8:9], 2
	v_cmp_eq_u32_e32 vcc_lo, s14, v14
	v_add_co_u32 v17, s3, v17, s34
	s_delay_alu instid0(VALU_DEP_1) | instskip(SKIP_1) | instid1(SALU_CYCLE_1)
	v_add_co_ci_u32_e64 v18, s3, s35, v18, s3
	s_or_b32 s13, vcc_lo, s13
	s_and_not1_b32 exec_lo, exec_lo, s13
	s_cbranch_execz .LBB14_9
.LBB14_17:                              ;   Parent Loop BB14_3 Depth=1
                                        ;     Parent Loop BB14_10 Depth=2
                                        ; =>    This Loop Header: Depth=3
                                        ;         Child Loop BB14_19 Depth 4
                                        ;           Child Loop BB14_20 Depth 5
	s_and_saveexec_b32 s3, s2
	s_cbranch_execz .LBB14_16
; %bb.18:                               ;   in Loop: Header=BB14_17 Depth=3
	s_mov_b32 s15, 0
	s_delay_alu instid0(SALU_CYCLE_1)
	s_mov_b32 s10, s15
	.p2align	6
.LBB14_19:                              ;   Parent Loop BB14_3 Depth=1
                                        ;     Parent Loop BB14_10 Depth=2
                                        ;       Parent Loop BB14_17 Depth=3
                                        ; =>      This Loop Header: Depth=4
                                        ;           Child Loop BB14_20 Depth 5
	s_delay_alu instid0(SALU_CYCLE_1)
	s_lshl_b64 s[34:35], s[10:11], 2
	s_mov_b32 s31, 0
	v_add_co_u32 v4, vcc_lo, v17, s34
	v_add_co_ci_u32_e32 v5, vcc_lo, s35, v18, vcc_lo
	global_load_b32 v7, v[4:5], off
.LBB14_20:                              ;   Parent Loop BB14_3 Depth=1
                                        ;     Parent Loop BB14_10 Depth=2
                                        ;       Parent Loop BB14_17 Depth=3
                                        ;         Parent Loop BB14_19 Depth=4
                                        ; =>        This Inner Loop Header: Depth=5
	s_waitcnt vmcnt(0)
	v_add_f32_e32 v6, v7, v19
	global_atomic_cmpswap_b32 v6, v[4:5], v[6:7], off glc
	s_waitcnt vmcnt(0)
	v_cmp_eq_u32_e32 vcc_lo, v6, v7
	v_mov_b32_e32 v7, v6
	s_or_b32 s31, vcc_lo, s31
	s_delay_alu instid0(SALU_CYCLE_1)
	s_and_not1_b32 exec_lo, exec_lo, s31
	s_cbranch_execnz .LBB14_20
; %bb.21:                               ;   in Loop: Header=BB14_19 Depth=4
	s_or_b32 exec_lo, exec_lo, s31
	s_add_i32 s10, s10, 1
	s_delay_alu instid0(SALU_CYCLE_1) | instskip(SKIP_1) | instid1(SALU_CYCLE_1)
	v_cmp_eq_u32_e32 vcc_lo, s10, v20
	s_or_b32 s15, vcc_lo, s15
	s_and_not1_b32 exec_lo, exec_lo, s15
	s_cbranch_execnz .LBB14_19
	s_branch .LBB14_16
.LBB14_22:
	s_endpgm
	.section	.rodata,"a",@progbits
	.p2align	6, 0x0
	.amdhsa_kernel _ZN2at6native12_GLOBAL__N_133atomic_adaptive_average_gradinputIfEEvPT_PKS3_iiii
		.amdhsa_group_segment_fixed_size 0
		.amdhsa_private_segment_fixed_size 0
		.amdhsa_kernarg_size 288
		.amdhsa_user_sgpr_count 14
		.amdhsa_user_sgpr_dispatch_ptr 0
		.amdhsa_user_sgpr_queue_ptr 0
		.amdhsa_user_sgpr_kernarg_segment_ptr 1
		.amdhsa_user_sgpr_dispatch_id 0
		.amdhsa_user_sgpr_private_segment_size 0
		.amdhsa_wavefront_size32 1
		.amdhsa_uses_dynamic_stack 0
		.amdhsa_enable_private_segment 0
		.amdhsa_system_sgpr_workgroup_id_x 1
		.amdhsa_system_sgpr_workgroup_id_y 1
		.amdhsa_system_sgpr_workgroup_id_z 0
		.amdhsa_system_sgpr_workgroup_info 0
		.amdhsa_system_vgpr_workitem_id 1
		.amdhsa_next_free_vgpr 25
		.amdhsa_next_free_sgpr 36
		.amdhsa_reserve_vcc 1
		.amdhsa_float_round_mode_32 0
		.amdhsa_float_round_mode_16_64 0
		.amdhsa_float_denorm_mode_32 3
		.amdhsa_float_denorm_mode_16_64 3
		.amdhsa_dx10_clamp 1
		.amdhsa_ieee_mode 1
		.amdhsa_fp16_overflow 0
		.amdhsa_workgroup_processor_mode 1
		.amdhsa_memory_ordered 1
		.amdhsa_forward_progress 0
		.amdhsa_shared_vgpr_count 0
		.amdhsa_exception_fp_ieee_invalid_op 0
		.amdhsa_exception_fp_denorm_src 0
		.amdhsa_exception_fp_ieee_div_zero 0
		.amdhsa_exception_fp_ieee_overflow 0
		.amdhsa_exception_fp_ieee_underflow 0
		.amdhsa_exception_fp_ieee_inexact 0
		.amdhsa_exception_int_div_zero 0
	.end_amdhsa_kernel
	.section	.text._ZN2at6native12_GLOBAL__N_133atomic_adaptive_average_gradinputIfEEvPT_PKS3_iiii,"axG",@progbits,_ZN2at6native12_GLOBAL__N_133atomic_adaptive_average_gradinputIfEEvPT_PKS3_iiii,comdat
.Lfunc_end14:
	.size	_ZN2at6native12_GLOBAL__N_133atomic_adaptive_average_gradinputIfEEvPT_PKS3_iiii, .Lfunc_end14-_ZN2at6native12_GLOBAL__N_133atomic_adaptive_average_gradinputIfEEvPT_PKS3_iiii
                                        ; -- End function
	.section	.AMDGPU.csdata,"",@progbits
; Kernel info:
; codeLenInByte = 3412
; NumSgprs: 38
; NumVgprs: 25
; ScratchSize: 0
; MemoryBound: 0
; FloatMode: 240
; IeeeMode: 1
; LDSByteSize: 0 bytes/workgroup (compile time only)
; SGPRBlocks: 4
; VGPRBlocks: 3
; NumSGPRsForWavesPerEU: 38
; NumVGPRsForWavesPerEU: 25
; Occupancy: 16
; WaveLimiterHint : 0
; COMPUTE_PGM_RSRC2:SCRATCH_EN: 0
; COMPUTE_PGM_RSRC2:USER_SGPR: 14
; COMPUTE_PGM_RSRC2:TRAP_HANDLER: 0
; COMPUTE_PGM_RSRC2:TGID_X_EN: 1
; COMPUTE_PGM_RSRC2:TGID_Y_EN: 1
; COMPUTE_PGM_RSRC2:TGID_Z_EN: 0
; COMPUTE_PGM_RSRC2:TIDIG_COMP_CNT: 1
	.section	.text._ZN2at6native12_GLOBAL__N_126adaptive_average_gradinputIfEEvPT_PKS3_iiii,"axG",@progbits,_ZN2at6native12_GLOBAL__N_126adaptive_average_gradinputIfEEvPT_PKS3_iiii,comdat
	.globl	_ZN2at6native12_GLOBAL__N_126adaptive_average_gradinputIfEEvPT_PKS3_iiii ; -- Begin function _ZN2at6native12_GLOBAL__N_126adaptive_average_gradinputIfEEvPT_PKS3_iiii
	.p2align	8
	.type	_ZN2at6native12_GLOBAL__N_126adaptive_average_gradinputIfEEvPT_PKS3_iiii,@function
_ZN2at6native12_GLOBAL__N_126adaptive_average_gradinputIfEEvPT_PKS3_iiii: ; @_ZN2at6native12_GLOBAL__N_126adaptive_average_gradinputIfEEvPT_PKS3_iiii
; %bb.0:
	s_clause 0x1
	s_load_b32 s10, s[0:1], 0x2c
	s_load_b128 s[4:7], s[0:1], 0x10
	v_bfe_u32 v3, v0, 10, 10
	s_add_u32 s8, s0, 32
	s_addc_u32 s9, s1, 0
	s_mov_b32 s2, exec_lo
	s_waitcnt lgkmcnt(0)
	s_lshr_b32 s11, s10, 16
	s_delay_alu instid0(SALU_CYCLE_1) | instskip(NEXT) | instid1(VALU_DEP_1)
	v_mad_u64_u32 v[1:2], null, s15, s11, v[3:4]
	v_cmpx_gt_i32_e64 s4, v1
	s_cbranch_execz .LBB15_28
; %bb.1:
	s_load_b128 s[0:3], s[0:1], 0x0
	s_mul_i32 s13, s14, s6
	s_load_b32 s23, s[8:9], 0x4
	s_mul_i32 s8, s13, s7
	s_mul_i32 s14, s14, s4
	s_ashr_i32 s9, s8, 31
	s_mul_i32 s18, s14, s5
	s_lshl_b64 s[8:9], s[8:9], 2
	s_mov_b32 s13, s4
	v_and_b32_e32 v13, 0x3ff, v0
	v_cvt_f32_u32_e32 v0, s13
	s_mov_b32 s12, s6
	s_mov_b32 s16, s7
	;; [unrolled: 1-line block ×4, first 2 shown]
	v_rcp_iflag_f32_e32 v0, v0
	s_waitcnt lgkmcnt(0)
	s_add_u32 s14, s2, s8
	s_addc_u32 s15, s3, s9
	s_ashr_i32 s19, s18, 31
	s_mul_i32 s23, s23, s11
	s_lshl_b64 s[2:3], s[18:19], 2
	s_delay_alu instid0(SALU_CYCLE_1)
	s_add_u32 s17, s0, s2
	s_addc_u32 s18, s1, s3
	s_abs_i32 s19, s4
	s_abs_i32 s22, s7
	v_cvt_f32_u32_e32 v2, s19
	v_cvt_f32_u32_e32 v5, s22
	s_abs_i32 s20, s5
	s_abs_i32 s21, s6
	v_cvt_f32_u32_e32 v3, s20
	v_rcp_iflag_f32_e32 v6, v2
	v_mov_b32_e32 v2, 0
	v_rcp_iflag_f32_e32 v5, v5
	v_cvt_f32_u32_e32 v4, s21
	s_sub_i32 s9, 0, s22
	v_rcp_iflag_f32_e32 v3, v3
	v_mul_f32_e32 v0, 0x4f7ffffe, v0
	s_sub_i32 s1, 0, s4
	v_rcp_iflag_f32_e32 v4, v4
	s_sub_i32 s2, 0, s19
	v_mul_f32_e32 v6, 0x4f7ffffe, v6
	s_sub_i32 s3, 0, s20
	v_mul_f32_e32 v5, 0x4f7ffffe, v5
	s_sub_i32 s8, 0, s21
	v_cmp_gt_i32_e64 s0, s5, v13
	s_waitcnt_depctr 0xfff
	v_mul_f32_e32 v3, 0x4f7ffffe, v3
	v_cvt_u32_f32_e32 v0, v0
	v_cvt_u32_f32_e32 v5, v5
	;; [unrolled: 1-line block ×3, first 2 shown]
	s_and_b32 s24, s10, 0xffff
	v_cvt_u32_f32_e32 v3, v3
	v_mul_lo_u32 v11, s1, v0
	v_mul_lo_u32 v10, s9, v5
	;; [unrolled: 1-line block ×3, first 2 shown]
	s_ashr_i32 s25, s6, 31
	v_mul_lo_u32 v8, s3, v3
	s_ashr_i32 s26, s4, 31
	s_ashr_i32 s27, s7, 31
	;; [unrolled: 1-line block ×3, first 2 shown]
	v_mul_hi_u32 v11, v0, v11
	v_mul_hi_u32 v10, v5, v10
	v_mul_f32_e32 v4, 0x4f7ffffe, v4
	v_mul_hi_u32 v7, v6, v7
	v_mul_hi_u32 v8, v3, v8
	s_sub_i32 s31, 0, s7
	v_add_nc_u32_e32 v18, v0, v11
	v_add_nc_u32_e32 v17, v5, v10
	v_cvt_u32_f32_e32 v4, v4
	v_add_nc_u32_e32 v14, v6, v7
	v_add_nc_u32_e32 v15, v3, v8
	s_delay_alu instid0(VALU_DEP_3) | instskip(NEXT) | instid1(VALU_DEP_1)
	v_mul_lo_u32 v9, s8, v4
	v_mul_hi_u32 v9, v4, v9
	s_delay_alu instid0(VALU_DEP_1)
	v_add_nc_u32_e32 v16, v4, v9
	s_branch .LBB15_3
.LBB15_2:                               ;   in Loop: Header=BB15_3 Depth=1
	s_or_b32 exec_lo, exec_lo, s33
	v_add_nc_u32_e32 v1, s23, v1
	s_delay_alu instid0(VALU_DEP_1) | instskip(SKIP_1) | instid1(SALU_CYCLE_1)
	v_cmp_le_i32_e32 vcc_lo, s4, v1
	s_or_b32 s30, vcc_lo, s30
	s_and_not1_b32 exec_lo, exec_lo, s30
	s_cbranch_execz .LBB15_28
.LBB15_3:                               ; =>This Loop Header: Depth=1
                                        ;     Child Loop BB15_10 Depth 2
                                        ;       Child Loop BB15_17 Depth 3
                                        ;         Child Loop BB15_24 Depth 4
	v_add_nc_u32_e32 v0, 1, v1
                                        ; implicit-def: $vgpr6_vgpr7
	s_mov_b32 s1, exec_lo
	s_delay_alu instid0(VALU_DEP_1) | instskip(NEXT) | instid1(VALU_DEP_1)
	v_mad_i64_i32 v[4:5], null, v0, s12, -1
	v_or_b32_e32 v3, s26, v5
	s_delay_alu instid0(VALU_DEP_1)
	v_cmpx_ne_u64_e32 0, v[2:3]
	s_xor_b32 s10, exec_lo, s1
	s_cbranch_execnz .LBB15_6
; %bb.4:                                ;   in Loop: Header=BB15_3 Depth=1
	s_and_not1_saveexec_b32 s1, s10
	s_cbranch_execnz .LBB15_7
.LBB15_5:                               ;   in Loop: Header=BB15_3 Depth=1
	s_or_b32 exec_lo, exec_lo, s1
	s_and_saveexec_b32 s33, s0
	s_cbranch_execz .LBB15_2
	s_branch .LBB15_8
.LBB15_6:                               ;   in Loop: Header=BB15_3 Depth=1
	s_add_u32 s8, s13, s26
	s_mov_b32 s2, s26
	s_mov_b32 s3, s26
	s_addc_u32 s9, s26, s26
	s_delay_alu instid0(SALU_CYCLE_1) | instskip(NEXT) | instid1(SALU_CYCLE_1)
	s_xor_b64 s[8:9], s[8:9], s[2:3]
	v_cvt_f32_u32_e32 v0, s8
	v_cvt_f32_u32_e32 v3, s9
	s_sub_u32 s1, 0, s8
	s_subb_u32 s3, 0, s9
	s_delay_alu instid0(VALU_DEP_1) | instskip(NEXT) | instid1(VALU_DEP_1)
	v_fmac_f32_e32 v0, 0x4f800000, v3
	v_rcp_f32_e32 v0, v0
	s_waitcnt_depctr 0xfff
	v_mul_f32_e32 v0, 0x5f7ffffc, v0
	s_delay_alu instid0(VALU_DEP_1) | instskip(NEXT) | instid1(VALU_DEP_1)
	v_mul_f32_e32 v3, 0x2f800000, v0
	v_trunc_f32_e32 v3, v3
	s_delay_alu instid0(VALU_DEP_1) | instskip(SKIP_1) | instid1(VALU_DEP_2)
	v_fmac_f32_e32 v0, 0xcf800000, v3
	v_cvt_u32_f32_e32 v3, v3
	v_cvt_u32_f32_e32 v0, v0
	s_delay_alu instid0(VALU_DEP_2) | instskip(NEXT) | instid1(VALU_DEP_2)
	v_mul_lo_u32 v6, s1, v3
	v_mul_hi_u32 v7, s1, v0
	v_mul_lo_u32 v8, s3, v0
	s_delay_alu instid0(VALU_DEP_2) | instskip(SKIP_1) | instid1(VALU_DEP_2)
	v_add_nc_u32_e32 v6, v7, v6
	v_mul_lo_u32 v7, s1, v0
	v_add_nc_u32_e32 v6, v6, v8
	s_delay_alu instid0(VALU_DEP_2) | instskip(NEXT) | instid1(VALU_DEP_2)
	v_mul_hi_u32 v8, v0, v7
	v_mul_lo_u32 v9, v0, v6
	v_mul_hi_u32 v10, v0, v6
	v_mul_hi_u32 v11, v3, v7
	v_mul_lo_u32 v7, v3, v7
	v_mul_hi_u32 v12, v3, v6
	v_mul_lo_u32 v6, v3, v6
	v_add_co_u32 v8, vcc_lo, v8, v9
	v_add_co_ci_u32_e32 v9, vcc_lo, 0, v10, vcc_lo
	s_delay_alu instid0(VALU_DEP_2) | instskip(NEXT) | instid1(VALU_DEP_2)
	v_add_co_u32 v7, vcc_lo, v8, v7
	v_add_co_ci_u32_e32 v7, vcc_lo, v9, v11, vcc_lo
	v_add_co_ci_u32_e32 v8, vcc_lo, 0, v12, vcc_lo
	v_ashrrev_i32_e32 v11, 31, v5
	s_delay_alu instid0(VALU_DEP_3) | instskip(NEXT) | instid1(VALU_DEP_3)
	v_add_co_u32 v6, vcc_lo, v7, v6
	v_add_co_ci_u32_e32 v7, vcc_lo, 0, v8, vcc_lo
	s_delay_alu instid0(VALU_DEP_2) | instskip(NEXT) | instid1(VALU_DEP_2)
	v_add_co_u32 v0, vcc_lo, v0, v6
	v_add_co_ci_u32_e32 v3, vcc_lo, v3, v7, vcc_lo
	s_delay_alu instid0(VALU_DEP_2) | instskip(SKIP_1) | instid1(VALU_DEP_3)
	v_mul_hi_u32 v6, s1, v0
	v_mul_lo_u32 v8, s3, v0
	v_mul_lo_u32 v7, s1, v3
	s_delay_alu instid0(VALU_DEP_1) | instskip(SKIP_1) | instid1(VALU_DEP_2)
	v_add_nc_u32_e32 v6, v6, v7
	v_mul_lo_u32 v7, s1, v0
	v_add_nc_u32_e32 v6, v6, v8
	s_delay_alu instid0(VALU_DEP_2) | instskip(NEXT) | instid1(VALU_DEP_2)
	v_mul_hi_u32 v8, v0, v7
	v_mul_lo_u32 v9, v0, v6
	v_mul_hi_u32 v10, v0, v6
	v_mul_hi_u32 v12, v3, v7
	v_mul_lo_u32 v7, v3, v7
	v_mul_hi_u32 v19, v3, v6
	v_mul_lo_u32 v6, v3, v6
	v_add_co_u32 v8, vcc_lo, v8, v9
	v_add_co_ci_u32_e32 v9, vcc_lo, 0, v10, vcc_lo
	s_delay_alu instid0(VALU_DEP_2) | instskip(NEXT) | instid1(VALU_DEP_2)
	v_add_co_u32 v7, vcc_lo, v8, v7
	v_add_co_ci_u32_e32 v7, vcc_lo, v9, v12, vcc_lo
	v_add_co_ci_u32_e32 v8, vcc_lo, 0, v19, vcc_lo
	v_add_co_u32 v4, vcc_lo, v4, v11
	v_add_co_ci_u32_e32 v5, vcc_lo, v5, v11, vcc_lo
	s_delay_alu instid0(VALU_DEP_4) | instskip(NEXT) | instid1(VALU_DEP_4)
	v_add_co_u32 v6, vcc_lo, v7, v6
	v_add_co_ci_u32_e32 v7, vcc_lo, 0, v8, vcc_lo
	s_delay_alu instid0(VALU_DEP_4) | instskip(NEXT) | instid1(VALU_DEP_3)
	v_xor_b32_e32 v9, v4, v11
	v_add_co_u32 v0, vcc_lo, v0, v6
	s_delay_alu instid0(VALU_DEP_3) | instskip(SKIP_1) | instid1(VALU_DEP_3)
	v_add_co_ci_u32_e32 v10, vcc_lo, v3, v7, vcc_lo
	v_xor_b32_e32 v12, v5, v11
	v_mul_hi_u32 v19, v9, v0
	s_delay_alu instid0(VALU_DEP_3) | instskip(NEXT) | instid1(VALU_DEP_3)
	v_mad_u64_u32 v[3:4], null, v9, v10, 0
	v_mad_u64_u32 v[5:6], null, v12, v0, 0
	;; [unrolled: 1-line block ×3, first 2 shown]
	s_delay_alu instid0(VALU_DEP_3) | instskip(NEXT) | instid1(VALU_DEP_4)
	v_add_co_u32 v0, vcc_lo, v19, v3
	v_add_co_ci_u32_e32 v3, vcc_lo, 0, v4, vcc_lo
	s_delay_alu instid0(VALU_DEP_2) | instskip(NEXT) | instid1(VALU_DEP_2)
	v_add_co_u32 v0, vcc_lo, v0, v5
	v_add_co_ci_u32_e32 v0, vcc_lo, v3, v6, vcc_lo
	v_add_co_ci_u32_e32 v3, vcc_lo, 0, v8, vcc_lo
	s_delay_alu instid0(VALU_DEP_2) | instskip(NEXT) | instid1(VALU_DEP_2)
	v_add_co_u32 v0, vcc_lo, v0, v7
	v_add_co_ci_u32_e32 v5, vcc_lo, 0, v3, vcc_lo
	s_delay_alu instid0(VALU_DEP_2) | instskip(SKIP_1) | instid1(VALU_DEP_3)
	v_mul_lo_u32 v6, s9, v0
	v_mad_u64_u32 v[3:4], null, s8, v0, 0
	v_mul_lo_u32 v5, s8, v5
	s_delay_alu instid0(VALU_DEP_2) | instskip(NEXT) | instid1(VALU_DEP_2)
	v_sub_co_u32 v3, vcc_lo, v9, v3
	v_add3_u32 v4, v4, v5, v6
	v_add_co_u32 v6, s1, v0, 2
	s_delay_alu instid0(VALU_DEP_2) | instskip(NEXT) | instid1(VALU_DEP_1)
	v_sub_nc_u32_e32 v5, v12, v4
	v_subrev_co_ci_u32_e64 v5, s1, s9, v5, vcc_lo
	v_sub_co_u32 v7, s1, v3, s8
	v_sub_co_ci_u32_e32 v4, vcc_lo, v12, v4, vcc_lo
	s_delay_alu instid0(VALU_DEP_3) | instskip(NEXT) | instid1(VALU_DEP_3)
	v_subrev_co_ci_u32_e64 v5, s1, 0, v5, s1
	v_cmp_le_u32_e32 vcc_lo, s8, v7
	v_cndmask_b32_e64 v7, 0, -1, vcc_lo
	s_delay_alu instid0(VALU_DEP_3)
	v_cmp_le_u32_e32 vcc_lo, s9, v5
	v_cndmask_b32_e64 v8, 0, -1, vcc_lo
	v_cmp_le_u32_e32 vcc_lo, s8, v3
	v_cndmask_b32_e64 v3, 0, -1, vcc_lo
	v_cmp_le_u32_e32 vcc_lo, s9, v4
	v_cndmask_b32_e64 v9, 0, -1, vcc_lo
	v_cmp_eq_u32_e32 vcc_lo, s9, v5
	v_cndmask_b32_e32 v5, v8, v7, vcc_lo
	v_add_co_u32 v7, vcc_lo, v0, 1
	v_cmp_eq_u32_e32 vcc_lo, s9, v4
	v_cndmask_b32_e32 v3, v9, v3, vcc_lo
	s_delay_alu instid0(VALU_DEP_4) | instskip(NEXT) | instid1(VALU_DEP_4)
	v_cmp_ne_u32_e32 vcc_lo, 0, v5
	v_cndmask_b32_e32 v4, v7, v6, vcc_lo
	s_delay_alu instid0(VALU_DEP_3) | instskip(SKIP_1) | instid1(VALU_DEP_3)
	v_cmp_ne_u32_e32 vcc_lo, 0, v3
	v_xor_b32_e32 v3, s2, v11
	v_cndmask_b32_e32 v0, v0, v4, vcc_lo
                                        ; implicit-def: $vgpr4_vgpr5
	s_delay_alu instid0(VALU_DEP_1) | instskip(NEXT) | instid1(VALU_DEP_1)
	v_xor_b32_e32 v0, v0, v3
	v_sub_co_u32 v6, vcc_lo, v0, v3
	s_and_not1_saveexec_b32 s1, s10
	s_cbranch_execz .LBB15_5
.LBB15_7:                               ;   in Loop: Header=BB15_3 Depth=1
	s_delay_alu instid0(VALU_DEP_3) | instskip(NEXT) | instid1(VALU_DEP_1)
	v_mul_hi_u32 v0, v4, v18
	v_mul_lo_u32 v3, v0, s13
	s_delay_alu instid0(VALU_DEP_1) | instskip(NEXT) | instid1(VALU_DEP_1)
	v_sub_nc_u32_e32 v3, v4, v3
	v_subrev_nc_u32_e32 v5, s13, v3
	v_cmp_le_u32_e32 vcc_lo, s13, v3
	s_delay_alu instid0(VALU_DEP_2) | instskip(NEXT) | instid1(VALU_DEP_1)
	v_dual_cndmask_b32 v3, v3, v5 :: v_dual_add_nc_u32 v4, 1, v0
	v_cndmask_b32_e32 v0, v0, v4, vcc_lo
	s_delay_alu instid0(VALU_DEP_2) | instskip(NEXT) | instid1(VALU_DEP_2)
	v_cmp_le_u32_e32 vcc_lo, s13, v3
	v_add_nc_u32_e32 v4, 1, v0
	s_delay_alu instid0(VALU_DEP_1)
	v_cndmask_b32_e32 v6, v0, v4, vcc_lo
	s_or_b32 exec_lo, exec_lo, s1
	s_and_saveexec_b32 s33, s0
	s_cbranch_execz .LBB15_2
.LBB15_8:                               ;   in Loop: Header=BB15_3 Depth=1
	v_sub_nc_u32_e32 v0, 0, v1
	s_mov_b32 s34, 0
	v_add_nc_u32_e32 v19, 1, v6
	s_delay_alu instid0(VALU_DEP_2) | instskip(NEXT) | instid1(VALU_DEP_1)
	v_max_i32_e32 v0, v1, v0
	v_mul_hi_u32 v3, v0, v14
	s_delay_alu instid0(VALU_DEP_1) | instskip(NEXT) | instid1(VALU_DEP_1)
	v_mul_lo_u32 v4, v3, s19
	v_sub_nc_u32_e32 v0, v0, v4
	v_add_nc_u32_e32 v4, 1, v3
	s_delay_alu instid0(VALU_DEP_2) | instskip(SKIP_1) | instid1(VALU_DEP_2)
	v_subrev_nc_u32_e32 v5, s19, v0
	v_cmp_le_u32_e32 vcc_lo, s19, v0
	v_dual_cndmask_b32 v3, v3, v4 :: v_dual_cndmask_b32 v0, v0, v5
	v_ashrrev_i32_e32 v4, 31, v1
	s_delay_alu instid0(VALU_DEP_2) | instskip(NEXT) | instid1(VALU_DEP_3)
	v_add_nc_u32_e32 v5, 1, v3
	v_cmp_le_u32_e32 vcc_lo, s19, v0
	s_delay_alu instid0(VALU_DEP_3) | instskip(NEXT) | instid1(VALU_DEP_3)
	v_xor_b32_e32 v4, s26, v4
	v_cndmask_b32_e32 v0, v3, v5, vcc_lo
	s_delay_alu instid0(VALU_DEP_1) | instskip(NEXT) | instid1(VALU_DEP_1)
	v_xor_b32_e32 v0, v0, v4
	v_sub_nc_u32_e32 v3, v0, v4
	s_delay_alu instid0(VALU_DEP_1) | instskip(NEXT) | instid1(VALU_DEP_1)
	v_mul_lo_u32 v0, v3, s4
	v_sub_nc_u32_e32 v0, v1, v0
	s_delay_alu instid0(VALU_DEP_1) | instskip(NEXT) | instid1(VALU_DEP_1)
	v_mul_lo_u32 v0, v0, s6
	v_sub_nc_u32_e32 v4, 0, v0
	s_delay_alu instid0(VALU_DEP_1) | instskip(SKIP_1) | instid1(VALU_DEP_2)
	v_max_i32_e32 v4, v0, v4
	v_ashrrev_i32_e32 v0, 31, v0
	v_mul_hi_u32 v5, v4, v14
	s_delay_alu instid0(VALU_DEP_2) | instskip(NEXT) | instid1(VALU_DEP_2)
	v_xor_b32_e32 v0, s26, v0
	v_mul_lo_u32 v7, v5, s19
	s_delay_alu instid0(VALU_DEP_1) | instskip(SKIP_1) | instid1(VALU_DEP_2)
	v_sub_nc_u32_e32 v4, v4, v7
	v_add_nc_u32_e32 v7, 1, v5
	v_subrev_nc_u32_e32 v8, s19, v4
	v_cmp_le_u32_e32 vcc_lo, s19, v4
	s_delay_alu instid0(VALU_DEP_2) | instskip(NEXT) | instid1(VALU_DEP_1)
	v_dual_cndmask_b32 v5, v5, v7 :: v_dual_cndmask_b32 v4, v4, v8
	v_add_nc_u32_e32 v7, 1, v5
	s_delay_alu instid0(VALU_DEP_2) | instskip(NEXT) | instid1(VALU_DEP_2)
	v_cmp_le_u32_e32 vcc_lo, s19, v4
	v_cndmask_b32_e32 v4, v5, v7, vcc_lo
	v_mul_lo_u32 v7, v1, s5
	s_delay_alu instid0(VALU_DEP_2) | instskip(NEXT) | instid1(VALU_DEP_2)
	v_xor_b32_e32 v4, v4, v0
	v_ashrrev_i32_e32 v8, 31, v7
	s_delay_alu instid0(VALU_DEP_2) | instskip(NEXT) | instid1(VALU_DEP_2)
	v_sub_nc_u32_e32 v0, v4, v0
	v_lshlrev_b64 v[7:8], 2, v[7:8]
	s_delay_alu instid0(VALU_DEP_2) | instskip(SKIP_1) | instid1(VALU_DEP_3)
	v_mad_u64_u32 v[4:5], null, v3, s6, v[0:1]
	v_mov_b32_e32 v5, v13
	v_add_co_u32 v21, vcc_lo, s17, v7
	s_delay_alu instid0(VALU_DEP_4) | instskip(NEXT) | instid1(VALU_DEP_4)
	v_add_co_ci_u32_e32 v22, vcc_lo, s18, v8, vcc_lo
	v_mul_lo_u32 v20, s7, v4
	v_cmp_lt_i32_e64 s1, v4, v19
	s_branch .LBB15_10
.LBB15_9:                               ;   in Loop: Header=BB15_10 Depth=2
	s_or_b32 exec_lo, exec_lo, s35
	v_add_nc_u32_e32 v5, s24, v5
	s_delay_alu instid0(VALU_DEP_1) | instskip(SKIP_1) | instid1(SALU_CYCLE_1)
	v_cmp_le_i32_e32 vcc_lo, s5, v5
	s_or_b32 s34, vcc_lo, s34
	s_and_not1_b32 exec_lo, exec_lo, s34
	s_cbranch_execz .LBB15_2
.LBB15_10:                              ;   Parent Loop BB15_3 Depth=1
                                        ; =>  This Loop Header: Depth=2
                                        ;       Child Loop BB15_17 Depth 3
                                        ;         Child Loop BB15_24 Depth 4
	v_add_nc_u32_e32 v3, 1, v5
	s_mov_b32 s2, exec_lo
	s_delay_alu instid0(VALU_DEP_1) | instskip(NEXT) | instid1(VALU_DEP_1)
	v_mad_u64_u32 v[6:7], null, v3, s16, -1
	v_mov_b32_e32 v0, v7
	s_delay_alu instid0(VALU_DEP_1) | instskip(NEXT) | instid1(VALU_DEP_1)
	v_mad_u64_u32 v[7:8], null, v3, s27, v[0:1]
                                        ; implicit-def: $vgpr8_vgpr9
	v_mov_b32_e32 v0, v7
	s_delay_alu instid0(VALU_DEP_1) | instskip(NEXT) | instid1(VALU_DEP_1)
	v_or_b32_e32 v3, s28, v0
	v_cmpx_ne_u64_e32 0, v[2:3]
	s_xor_b32 s3, exec_lo, s2
	s_cbranch_execnz .LBB15_13
; %bb.11:                               ;   in Loop: Header=BB15_10 Depth=2
	s_and_not1_saveexec_b32 s2, s3
	s_cbranch_execnz .LBB15_14
.LBB15_12:                              ;   in Loop: Header=BB15_10 Depth=2
	s_or_b32 exec_lo, exec_lo, s2
	v_mov_b32_e32 v6, v2
	s_and_saveexec_b32 s35, s1
	s_cbranch_execz .LBB15_9
	s_branch .LBB15_15
.LBB15_13:                              ;   in Loop: Header=BB15_10 Depth=2
	s_add_u32 s10, s29, s28
	s_mov_b32 s8, s28
	s_mov_b32 s9, s28
	s_addc_u32 s11, s28, s28
	s_delay_alu instid0(SALU_CYCLE_1) | instskip(NEXT) | instid1(SALU_CYCLE_1)
	s_xor_b64 s[10:11], s[10:11], s[8:9]
	v_cvt_f32_u32_e32 v3, s10
	v_cvt_f32_u32_e32 v7, s11
	s_sub_u32 s2, 0, s10
	s_subb_u32 s9, 0, s11
	s_delay_alu instid0(VALU_DEP_1) | instskip(NEXT) | instid1(VALU_DEP_1)
	v_fmac_f32_e32 v3, 0x4f800000, v7
	v_rcp_f32_e32 v3, v3
	s_waitcnt_depctr 0xfff
	v_mul_f32_e32 v3, 0x5f7ffffc, v3
	s_delay_alu instid0(VALU_DEP_1) | instskip(NEXT) | instid1(VALU_DEP_1)
	v_mul_f32_e32 v7, 0x2f800000, v3
	v_trunc_f32_e32 v7, v7
	s_delay_alu instid0(VALU_DEP_1) | instskip(SKIP_1) | instid1(VALU_DEP_2)
	v_fmac_f32_e32 v3, 0xcf800000, v7
	v_cvt_u32_f32_e32 v7, v7
	v_cvt_u32_f32_e32 v3, v3
	s_delay_alu instid0(VALU_DEP_2) | instskip(NEXT) | instid1(VALU_DEP_2)
	v_mul_lo_u32 v8, s2, v7
	v_mul_hi_u32 v9, s2, v3
	v_mul_lo_u32 v10, s9, v3
	s_delay_alu instid0(VALU_DEP_2) | instskip(SKIP_1) | instid1(VALU_DEP_2)
	v_add_nc_u32_e32 v8, v9, v8
	v_mul_lo_u32 v9, s2, v3
	v_add_nc_u32_e32 v8, v8, v10
	s_delay_alu instid0(VALU_DEP_2) | instskip(NEXT) | instid1(VALU_DEP_2)
	v_mul_hi_u32 v10, v3, v9
	v_mul_lo_u32 v11, v3, v8
	v_mul_hi_u32 v12, v3, v8
	v_mul_hi_u32 v23, v7, v9
	v_mul_lo_u32 v9, v7, v9
	v_mul_hi_u32 v24, v7, v8
	v_mul_lo_u32 v8, v7, v8
	v_add_co_u32 v10, vcc_lo, v10, v11
	v_add_co_ci_u32_e32 v11, vcc_lo, 0, v12, vcc_lo
	s_delay_alu instid0(VALU_DEP_2) | instskip(NEXT) | instid1(VALU_DEP_2)
	v_add_co_u32 v9, vcc_lo, v10, v9
	v_add_co_ci_u32_e32 v9, vcc_lo, v11, v23, vcc_lo
	v_add_co_ci_u32_e32 v10, vcc_lo, 0, v24, vcc_lo
	v_ashrrev_i32_e32 v23, 31, v0
	s_delay_alu instid0(VALU_DEP_3) | instskip(NEXT) | instid1(VALU_DEP_3)
	v_add_co_u32 v8, vcc_lo, v9, v8
	v_add_co_ci_u32_e32 v9, vcc_lo, 0, v10, vcc_lo
	s_delay_alu instid0(VALU_DEP_2) | instskip(NEXT) | instid1(VALU_DEP_2)
	v_add_co_u32 v3, vcc_lo, v3, v8
	v_add_co_ci_u32_e32 v7, vcc_lo, v7, v9, vcc_lo
	s_delay_alu instid0(VALU_DEP_2) | instskip(SKIP_1) | instid1(VALU_DEP_3)
	v_mul_hi_u32 v8, s2, v3
	v_mul_lo_u32 v10, s9, v3
	v_mul_lo_u32 v9, s2, v7
	s_delay_alu instid0(VALU_DEP_1) | instskip(SKIP_1) | instid1(VALU_DEP_2)
	v_add_nc_u32_e32 v8, v8, v9
	v_mul_lo_u32 v9, s2, v3
	v_add_nc_u32_e32 v8, v8, v10
	s_delay_alu instid0(VALU_DEP_2) | instskip(NEXT) | instid1(VALU_DEP_2)
	v_mul_hi_u32 v10, v3, v9
	v_mul_lo_u32 v11, v3, v8
	v_mul_hi_u32 v12, v3, v8
	v_mul_hi_u32 v24, v7, v9
	v_mul_lo_u32 v9, v7, v9
	v_mul_hi_u32 v25, v7, v8
	v_mul_lo_u32 v8, v7, v8
	v_add_co_u32 v10, vcc_lo, v10, v11
	v_add_co_ci_u32_e32 v11, vcc_lo, 0, v12, vcc_lo
	s_delay_alu instid0(VALU_DEP_2) | instskip(NEXT) | instid1(VALU_DEP_2)
	v_add_co_u32 v9, vcc_lo, v10, v9
	v_add_co_ci_u32_e32 v9, vcc_lo, v11, v24, vcc_lo
	v_add_co_ci_u32_e32 v10, vcc_lo, 0, v25, vcc_lo
	v_add_co_u32 v6, vcc_lo, v6, v23
	v_add_co_ci_u32_e32 v0, vcc_lo, v0, v23, vcc_lo
	s_delay_alu instid0(VALU_DEP_4) | instskip(NEXT) | instid1(VALU_DEP_4)
	v_add_co_u32 v8, vcc_lo, v9, v8
	v_add_co_ci_u32_e32 v9, vcc_lo, 0, v10, vcc_lo
	s_delay_alu instid0(VALU_DEP_4) | instskip(NEXT) | instid1(VALU_DEP_3)
	v_xor_b32_e32 v12, v6, v23
	v_add_co_u32 v3, vcc_lo, v3, v8
	s_delay_alu instid0(VALU_DEP_3) | instskip(SKIP_1) | instid1(VALU_DEP_3)
	v_add_co_ci_u32_e32 v24, vcc_lo, v7, v9, vcc_lo
	v_xor_b32_e32 v0, v0, v23
	v_mul_hi_u32 v25, v12, v3
	s_delay_alu instid0(VALU_DEP_3) | instskip(NEXT) | instid1(VALU_DEP_3)
	v_mad_u64_u32 v[6:7], null, v12, v24, 0
	v_mad_u64_u32 v[8:9], null, v0, v3, 0
	;; [unrolled: 1-line block ×3, first 2 shown]
	s_delay_alu instid0(VALU_DEP_3) | instskip(NEXT) | instid1(VALU_DEP_4)
	v_add_co_u32 v3, vcc_lo, v25, v6
	v_add_co_ci_u32_e32 v6, vcc_lo, 0, v7, vcc_lo
	s_delay_alu instid0(VALU_DEP_2) | instskip(NEXT) | instid1(VALU_DEP_2)
	v_add_co_u32 v3, vcc_lo, v3, v8
	v_add_co_ci_u32_e32 v3, vcc_lo, v6, v9, vcc_lo
	v_add_co_ci_u32_e32 v6, vcc_lo, 0, v11, vcc_lo
	s_delay_alu instid0(VALU_DEP_2) | instskip(NEXT) | instid1(VALU_DEP_2)
	v_add_co_u32 v3, vcc_lo, v3, v10
	v_add_co_ci_u32_e32 v8, vcc_lo, 0, v6, vcc_lo
	s_delay_alu instid0(VALU_DEP_2) | instskip(SKIP_1) | instid1(VALU_DEP_3)
	v_mul_lo_u32 v9, s11, v3
	v_mad_u64_u32 v[6:7], null, s10, v3, 0
	v_mul_lo_u32 v8, s10, v8
	s_delay_alu instid0(VALU_DEP_2) | instskip(NEXT) | instid1(VALU_DEP_2)
	v_sub_co_u32 v6, vcc_lo, v12, v6
	v_add3_u32 v7, v7, v8, v9
	v_add_co_u32 v9, s2, v3, 2
	s_delay_alu instid0(VALU_DEP_2) | instskip(NEXT) | instid1(VALU_DEP_1)
	v_sub_nc_u32_e32 v8, v0, v7
	v_subrev_co_ci_u32_e64 v8, s2, s11, v8, vcc_lo
	v_sub_co_u32 v10, s2, v6, s10
	v_sub_co_ci_u32_e32 v0, vcc_lo, v0, v7, vcc_lo
	s_delay_alu instid0(VALU_DEP_3) | instskip(NEXT) | instid1(VALU_DEP_3)
	v_subrev_co_ci_u32_e64 v8, s2, 0, v8, s2
	v_cmp_le_u32_e32 vcc_lo, s10, v10
	v_cndmask_b32_e64 v7, 0, -1, vcc_lo
	s_delay_alu instid0(VALU_DEP_3)
	v_cmp_le_u32_e32 vcc_lo, s11, v8
	v_cndmask_b32_e64 v10, 0, -1, vcc_lo
	v_cmp_le_u32_e32 vcc_lo, s10, v6
	v_cndmask_b32_e64 v6, 0, -1, vcc_lo
	;; [unrolled: 2-line block ×3, first 2 shown]
	v_cmp_eq_u32_e32 vcc_lo, s11, v8
	v_cndmask_b32_e32 v7, v10, v7, vcc_lo
	v_add_co_u32 v8, vcc_lo, v3, 1
	v_cmp_eq_u32_e32 vcc_lo, s11, v0
	v_cndmask_b32_e32 v0, v11, v6, vcc_lo
	s_delay_alu instid0(VALU_DEP_4) | instskip(NEXT) | instid1(VALU_DEP_4)
	v_cmp_ne_u32_e32 vcc_lo, 0, v7
	v_cndmask_b32_e32 v6, v8, v9, vcc_lo
	s_delay_alu instid0(VALU_DEP_3) | instskip(NEXT) | instid1(VALU_DEP_2)
	v_cmp_ne_u32_e32 vcc_lo, 0, v0
	v_cndmask_b32_e32 v0, v3, v6, vcc_lo
	v_xor_b32_e32 v3, s8, v23
                                        ; implicit-def: $vgpr6_vgpr7
	s_delay_alu instid0(VALU_DEP_1) | instskip(NEXT) | instid1(VALU_DEP_1)
	v_xor_b32_e32 v0, v0, v3
	v_sub_co_u32 v8, vcc_lo, v0, v3
	s_and_not1_saveexec_b32 s2, s3
	s_cbranch_execz .LBB15_12
.LBB15_14:                              ;   in Loop: Header=BB15_10 Depth=2
	v_cvt_f32_u32_e32 v0, s29
	s_sub_i32 s3, 0, s29
	s_delay_alu instid0(VALU_DEP_1) | instskip(SKIP_2) | instid1(VALU_DEP_1)
	v_rcp_iflag_f32_e32 v0, v0
	s_waitcnt_depctr 0xfff
	v_mul_f32_e32 v0, 0x4f7ffffe, v0
	v_cvt_u32_f32_e32 v0, v0
	s_delay_alu instid0(VALU_DEP_1) | instskip(NEXT) | instid1(VALU_DEP_1)
	v_mul_lo_u32 v3, s3, v0
	v_mul_hi_u32 v3, v0, v3
	s_delay_alu instid0(VALU_DEP_1) | instskip(NEXT) | instid1(VALU_DEP_1)
	v_add_nc_u32_e32 v0, v0, v3
	v_mul_hi_u32 v0, v6, v0
	s_delay_alu instid0(VALU_DEP_1) | instskip(NEXT) | instid1(VALU_DEP_1)
	v_mul_lo_u32 v3, v0, s29
	v_sub_nc_u32_e32 v3, v6, v3
	v_add_nc_u32_e32 v6, 1, v0
	s_delay_alu instid0(VALU_DEP_2) | instskip(SKIP_1) | instid1(VALU_DEP_2)
	v_subrev_nc_u32_e32 v7, s29, v3
	v_cmp_le_u32_e32 vcc_lo, s29, v3
	v_dual_cndmask_b32 v3, v3, v7 :: v_dual_cndmask_b32 v0, v0, v6
	s_delay_alu instid0(VALU_DEP_1) | instskip(NEXT) | instid1(VALU_DEP_2)
	v_cmp_le_u32_e32 vcc_lo, s29, v3
	v_add_nc_u32_e32 v6, 1, v0
	s_delay_alu instid0(VALU_DEP_1)
	v_cndmask_b32_e32 v8, v0, v6, vcc_lo
	s_or_b32 exec_lo, exec_lo, s2
	v_mov_b32_e32 v6, v2
	s_and_saveexec_b32 s35, s1
	s_cbranch_execz .LBB15_9
.LBB15_15:                              ;   in Loop: Header=BB15_10 Depth=2
	v_mul_lo_u32 v0, v5, s7
	v_mul_hi_u32 v7, v5, v15
	s_mov_b32 s36, 0
	v_mov_b32_e32 v24, v20
	s_delay_alu instid0(VALU_DEP_3) | instskip(NEXT) | instid1(VALU_DEP_3)
	v_sub_nc_u32_e32 v3, 0, v0
	v_mul_lo_u32 v10, v7, s20
	v_add_nc_u32_e32 v12, 1, v7
	s_delay_alu instid0(VALU_DEP_3) | instskip(SKIP_1) | instid1(VALU_DEP_4)
	v_max_i32_e32 v3, v0, v3
	v_ashrrev_i32_e32 v0, 31, v0
	v_sub_nc_u32_e32 v10, v5, v10
	s_delay_alu instid0(VALU_DEP_3) | instskip(NEXT) | instid1(VALU_DEP_3)
	v_mul_hi_u32 v9, v3, v15
	v_xor_b32_e32 v0, s28, v0
	s_delay_alu instid0(VALU_DEP_3) | instskip(NEXT) | instid1(VALU_DEP_3)
	v_cmp_le_u32_e32 vcc_lo, s20, v10
	v_mul_lo_u32 v11, v9, s20
	v_cndmask_b32_e32 v7, v7, v12, vcc_lo
	v_subrev_nc_u32_e32 v12, s20, v10
	s_delay_alu instid0(VALU_DEP_1) | instskip(NEXT) | instid1(VALU_DEP_4)
	v_cndmask_b32_e32 v10, v10, v12, vcc_lo
	v_sub_nc_u32_e32 v3, v3, v11
	v_add_nc_u32_e32 v11, 1, v9
	s_delay_alu instid0(VALU_DEP_3) | instskip(NEXT) | instid1(VALU_DEP_3)
	v_cmp_le_u32_e32 vcc_lo, s20, v10
	v_cmp_le_u32_e64 s2, s20, v3
	v_subrev_nc_u32_e32 v23, s20, v3
	s_delay_alu instid0(VALU_DEP_2) | instskip(NEXT) | instid1(VALU_DEP_2)
	v_cndmask_b32_e64 v9, v9, v11, s2
	v_cndmask_b32_e64 v3, v3, v23, s2
	v_add_nc_u32_e32 v23, 1, v8
	s_delay_alu instid0(VALU_DEP_3) | instskip(SKIP_1) | instid1(VALU_DEP_1)
	v_add_nc_u32_e32 v12, 1, v9
	v_add_nc_u32_e32 v11, 1, v7
	v_cndmask_b32_e32 v7, v7, v11, vcc_lo
	v_cmp_le_u32_e32 vcc_lo, s20, v3
	s_delay_alu instid0(VALU_DEP_2) | instskip(SKIP_2) | instid1(VALU_DEP_3)
	v_xor_b32_e32 v7, s28, v7
	v_cndmask_b32_e32 v3, v9, v12, vcc_lo
	v_lshlrev_b64 v[9:10], 2, v[5:6]
	v_subrev_nc_u32_e32 v11, s28, v7
	s_delay_alu instid0(VALU_DEP_3) | instskip(NEXT) | instid1(VALU_DEP_1)
	v_xor_b32_e32 v3, v3, v0
	v_sub_nc_u32_e32 v0, v3, v0
	s_delay_alu instid0(VALU_DEP_1) | instskip(SKIP_3) | instid1(VALU_DEP_4)
	v_mad_u64_u32 v[6:7], null, v11, s7, v[0:1]
	v_mov_b32_e32 v0, v4
	v_add_co_u32 v7, vcc_lo, v21, v9
	v_add_co_ci_u32_e32 v8, vcc_lo, v22, v10, vcc_lo
	v_cmp_lt_i32_e64 s2, v6, v23
	s_branch .LBB15_17
.LBB15_16:                              ;   in Loop: Header=BB15_17 Depth=3
	s_or_b32 exec_lo, exec_lo, s37
	s_delay_alu instid0(VALU_DEP_1) | instskip(SKIP_3) | instid1(SALU_CYCLE_1)
	v_cmp_ge_i32_e32 vcc_lo, v25, v19
	v_add_nc_u32_e32 v24, s7, v24
	v_mov_b32_e32 v0, v25
	s_or_b32 s36, vcc_lo, s36
	s_and_not1_b32 exec_lo, exec_lo, s36
	s_cbranch_execz .LBB15_9
.LBB15_17:                              ;   Parent Loop BB15_3 Depth=1
                                        ;     Parent Loop BB15_10 Depth=2
                                        ; =>    This Loop Header: Depth=3
                                        ;         Child Loop BB15_24 Depth 4
	s_delay_alu instid0(VALU_DEP_1) | instskip(NEXT) | instid1(VALU_DEP_2)
	v_add_nc_u32_e32 v25, 1, v0
	s_and_saveexec_b32 s37, s2
	s_cbranch_execz .LBB15_16
; %bb.18:                               ;   in Loop: Header=BB15_17 Depth=3
	s_delay_alu instid0(VALU_DEP_1) | instskip(SKIP_1) | instid1(VALU_DEP_1)
	v_mad_i64_i32 v[9:10], null, v25, s13, -1
                                        ; implicit-def: $vgpr11_vgpr12
	s_mov_b32 s3, exec_lo
	v_or_b32_e32 v3, s25, v10
	s_delay_alu instid0(VALU_DEP_1)
	v_cmpx_ne_u64_e32 0, v[2:3]
	s_xor_b32 s38, exec_lo, s3
	s_cbranch_execz .LBB15_20
; %bb.19:                               ;   in Loop: Header=BB15_17 Depth=3
	s_add_u32 s10, s12, s25
	s_mov_b32 s8, s25
	s_mov_b32 s9, s25
	s_addc_u32 s11, s25, s25
	s_delay_alu instid0(SALU_CYCLE_1) | instskip(NEXT) | instid1(SALU_CYCLE_1)
	s_xor_b64 s[10:11], s[10:11], s[8:9]
	v_cvt_f32_u32_e32 v3, s10
	v_cvt_f32_u32_e32 v11, s11
	s_sub_u32 s3, 0, s10
	s_subb_u32 s9, 0, s11
	s_delay_alu instid0(VALU_DEP_1) | instskip(NEXT) | instid1(VALU_DEP_1)
	v_fmac_f32_e32 v3, 0x4f800000, v11
	v_rcp_f32_e32 v3, v3
	s_waitcnt_depctr 0xfff
	v_mul_f32_e32 v3, 0x5f7ffffc, v3
	s_delay_alu instid0(VALU_DEP_1) | instskip(NEXT) | instid1(VALU_DEP_1)
	v_mul_f32_e32 v11, 0x2f800000, v3
	v_trunc_f32_e32 v11, v11
	s_delay_alu instid0(VALU_DEP_1) | instskip(SKIP_1) | instid1(VALU_DEP_2)
	v_fmac_f32_e32 v3, 0xcf800000, v11
	v_cvt_u32_f32_e32 v11, v11
	v_cvt_u32_f32_e32 v3, v3
	s_delay_alu instid0(VALU_DEP_2) | instskip(NEXT) | instid1(VALU_DEP_2)
	v_mul_lo_u32 v12, s3, v11
	v_mul_hi_u32 v26, s3, v3
	v_mul_lo_u32 v27, s9, v3
	s_delay_alu instid0(VALU_DEP_2) | instskip(SKIP_1) | instid1(VALU_DEP_2)
	v_add_nc_u32_e32 v12, v26, v12
	v_mul_lo_u32 v26, s3, v3
	v_add_nc_u32_e32 v12, v12, v27
	s_delay_alu instid0(VALU_DEP_2) | instskip(NEXT) | instid1(VALU_DEP_2)
	v_mul_hi_u32 v27, v3, v26
	v_mul_lo_u32 v28, v3, v12
	v_mul_hi_u32 v29, v3, v12
	v_mul_hi_u32 v30, v11, v26
	v_mul_lo_u32 v26, v11, v26
	v_mul_hi_u32 v31, v11, v12
	v_mul_lo_u32 v12, v11, v12
	v_add_co_u32 v27, vcc_lo, v27, v28
	v_add_co_ci_u32_e32 v28, vcc_lo, 0, v29, vcc_lo
	s_delay_alu instid0(VALU_DEP_2) | instskip(NEXT) | instid1(VALU_DEP_2)
	v_add_co_u32 v26, vcc_lo, v27, v26
	v_add_co_ci_u32_e32 v26, vcc_lo, v28, v30, vcc_lo
	v_add_co_ci_u32_e32 v27, vcc_lo, 0, v31, vcc_lo
	v_ashrrev_i32_e32 v30, 31, v10
	s_delay_alu instid0(VALU_DEP_3) | instskip(NEXT) | instid1(VALU_DEP_3)
	v_add_co_u32 v12, vcc_lo, v26, v12
	v_add_co_ci_u32_e32 v26, vcc_lo, 0, v27, vcc_lo
	s_delay_alu instid0(VALU_DEP_2) | instskip(NEXT) | instid1(VALU_DEP_2)
	v_add_co_u32 v3, vcc_lo, v3, v12
	v_add_co_ci_u32_e32 v11, vcc_lo, v11, v26, vcc_lo
	s_delay_alu instid0(VALU_DEP_2) | instskip(SKIP_1) | instid1(VALU_DEP_3)
	v_mul_hi_u32 v12, s3, v3
	v_mul_lo_u32 v27, s9, v3
	v_mul_lo_u32 v26, s3, v11
	s_delay_alu instid0(VALU_DEP_1) | instskip(SKIP_1) | instid1(VALU_DEP_2)
	v_add_nc_u32_e32 v12, v12, v26
	v_mul_lo_u32 v26, s3, v3
	v_add_nc_u32_e32 v12, v12, v27
	s_delay_alu instid0(VALU_DEP_2) | instskip(NEXT) | instid1(VALU_DEP_2)
	v_mul_hi_u32 v27, v3, v26
	v_mul_lo_u32 v28, v3, v12
	v_mul_hi_u32 v29, v3, v12
	v_mul_hi_u32 v31, v11, v26
	v_mul_lo_u32 v26, v11, v26
	v_mul_hi_u32 v32, v11, v12
	v_mul_lo_u32 v12, v11, v12
	v_add_co_u32 v27, vcc_lo, v27, v28
	v_add_co_ci_u32_e32 v28, vcc_lo, 0, v29, vcc_lo
	s_delay_alu instid0(VALU_DEP_2) | instskip(NEXT) | instid1(VALU_DEP_2)
	v_add_co_u32 v26, vcc_lo, v27, v26
	v_add_co_ci_u32_e32 v26, vcc_lo, v28, v31, vcc_lo
	v_add_co_ci_u32_e32 v27, vcc_lo, 0, v32, vcc_lo
	v_add_co_u32 v9, vcc_lo, v9, v30
	v_add_co_ci_u32_e32 v10, vcc_lo, v10, v30, vcc_lo
	s_delay_alu instid0(VALU_DEP_4) | instskip(NEXT) | instid1(VALU_DEP_4)
	v_add_co_u32 v12, vcc_lo, v26, v12
	v_add_co_ci_u32_e32 v26, vcc_lo, 0, v27, vcc_lo
	s_delay_alu instid0(VALU_DEP_4) | instskip(NEXT) | instid1(VALU_DEP_3)
	v_xor_b32_e32 v28, v9, v30
	v_add_co_u32 v3, vcc_lo, v3, v12
	s_delay_alu instid0(VALU_DEP_3) | instskip(SKIP_1) | instid1(VALU_DEP_3)
	v_add_co_ci_u32_e32 v29, vcc_lo, v11, v26, vcc_lo
	v_xor_b32_e32 v31, v10, v30
	v_mul_hi_u32 v32, v28, v3
	s_delay_alu instid0(VALU_DEP_3) | instskip(NEXT) | instid1(VALU_DEP_3)
	v_mad_u64_u32 v[9:10], null, v28, v29, 0
	v_mad_u64_u32 v[11:12], null, v31, v3, 0
	;; [unrolled: 1-line block ×3, first 2 shown]
	s_delay_alu instid0(VALU_DEP_3) | instskip(NEXT) | instid1(VALU_DEP_4)
	v_add_co_u32 v3, vcc_lo, v32, v9
	v_add_co_ci_u32_e32 v9, vcc_lo, 0, v10, vcc_lo
	s_delay_alu instid0(VALU_DEP_2) | instskip(NEXT) | instid1(VALU_DEP_2)
	v_add_co_u32 v3, vcc_lo, v3, v11
	v_add_co_ci_u32_e32 v3, vcc_lo, v9, v12, vcc_lo
	v_add_co_ci_u32_e32 v9, vcc_lo, 0, v27, vcc_lo
	s_delay_alu instid0(VALU_DEP_2) | instskip(NEXT) | instid1(VALU_DEP_2)
	v_add_co_u32 v3, vcc_lo, v3, v26
	v_add_co_ci_u32_e32 v11, vcc_lo, 0, v9, vcc_lo
	s_delay_alu instid0(VALU_DEP_2) | instskip(SKIP_1) | instid1(VALU_DEP_3)
	v_mul_lo_u32 v12, s11, v3
	v_mad_u64_u32 v[9:10], null, s10, v3, 0
	v_mul_lo_u32 v11, s10, v11
	s_delay_alu instid0(VALU_DEP_2) | instskip(NEXT) | instid1(VALU_DEP_2)
	v_sub_co_u32 v9, vcc_lo, v28, v9
	v_add3_u32 v10, v10, v11, v12
	v_add_co_u32 v12, s3, v3, 2
	s_delay_alu instid0(VALU_DEP_2) | instskip(NEXT) | instid1(VALU_DEP_1)
	v_sub_nc_u32_e32 v11, v31, v10
	v_subrev_co_ci_u32_e64 v11, s3, s11, v11, vcc_lo
	v_sub_co_u32 v26, s3, v9, s10
	v_sub_co_ci_u32_e32 v10, vcc_lo, v31, v10, vcc_lo
	s_delay_alu instid0(VALU_DEP_3) | instskip(NEXT) | instid1(VALU_DEP_3)
	v_subrev_co_ci_u32_e64 v11, s3, 0, v11, s3
	v_cmp_le_u32_e32 vcc_lo, s10, v26
	v_cndmask_b32_e64 v26, 0, -1, vcc_lo
	s_delay_alu instid0(VALU_DEP_3)
	v_cmp_le_u32_e32 vcc_lo, s11, v11
	v_cndmask_b32_e64 v27, 0, -1, vcc_lo
	v_cmp_le_u32_e32 vcc_lo, s10, v9
	v_cndmask_b32_e64 v9, 0, -1, vcc_lo
	;; [unrolled: 2-line block ×3, first 2 shown]
	v_cmp_eq_u32_e32 vcc_lo, s11, v11
	v_cndmask_b32_e32 v11, v27, v26, vcc_lo
	v_add_co_u32 v26, vcc_lo, v3, 1
	v_cmp_eq_u32_e32 vcc_lo, s11, v10
	v_cndmask_b32_e32 v9, v28, v9, vcc_lo
	s_delay_alu instid0(VALU_DEP_4) | instskip(NEXT) | instid1(VALU_DEP_4)
	v_cmp_ne_u32_e32 vcc_lo, 0, v11
	v_cndmask_b32_e32 v10, v26, v12, vcc_lo
	s_delay_alu instid0(VALU_DEP_3) | instskip(SKIP_1) | instid1(VALU_DEP_3)
	v_cmp_ne_u32_e32 vcc_lo, 0, v9
	v_xor_b32_e32 v9, s8, v30
	v_cndmask_b32_e32 v3, v3, v10, vcc_lo
	s_delay_alu instid0(VALU_DEP_1) | instskip(NEXT) | instid1(VALU_DEP_1)
	v_xor_b32_e32 v3, v3, v9
	v_sub_co_u32 v11, vcc_lo, v3, v9
                                        ; implicit-def: $vgpr9_vgpr10
.LBB15_20:                              ;   in Loop: Header=BB15_17 Depth=3
	s_and_not1_saveexec_b32 s3, s38
	s_cbranch_execz .LBB15_22
; %bb.21:                               ;   in Loop: Header=BB15_17 Depth=3
	v_cvt_f32_u32_e32 v3, s12
	s_sub_i32 s8, 0, s12
	s_delay_alu instid0(VALU_DEP_1) | instskip(SKIP_2) | instid1(VALU_DEP_1)
	v_rcp_iflag_f32_e32 v3, v3
	s_waitcnt_depctr 0xfff
	v_mul_f32_e32 v3, 0x4f7ffffe, v3
	v_cvt_u32_f32_e32 v3, v3
	s_delay_alu instid0(VALU_DEP_1) | instskip(NEXT) | instid1(VALU_DEP_1)
	v_mul_lo_u32 v10, s8, v3
	v_mul_hi_u32 v10, v3, v10
	s_delay_alu instid0(VALU_DEP_1) | instskip(NEXT) | instid1(VALU_DEP_1)
	v_add_nc_u32_e32 v3, v3, v10
	v_mul_hi_u32 v3, v9, v3
	s_delay_alu instid0(VALU_DEP_1) | instskip(NEXT) | instid1(VALU_DEP_1)
	v_mul_lo_u32 v10, v3, s12
	v_sub_nc_u32_e32 v9, v9, v10
	v_add_nc_u32_e32 v10, 1, v3
	s_delay_alu instid0(VALU_DEP_2) | instskip(SKIP_1) | instid1(VALU_DEP_2)
	v_subrev_nc_u32_e32 v11, s12, v9
	v_cmp_le_u32_e32 vcc_lo, s12, v9
	v_cndmask_b32_e32 v9, v9, v11, vcc_lo
	s_delay_alu instid0(VALU_DEP_4) | instskip(NEXT) | instid1(VALU_DEP_2)
	v_cndmask_b32_e32 v3, v3, v10, vcc_lo
	v_cmp_le_u32_e32 vcc_lo, s12, v9
	s_delay_alu instid0(VALU_DEP_2) | instskip(NEXT) | instid1(VALU_DEP_1)
	v_add_nc_u32_e32 v10, 1, v3
	v_cndmask_b32_e32 v11, v3, v10, vcc_lo
.LBB15_22:                              ;   in Loop: Header=BB15_17 Depth=3
	s_or_b32 exec_lo, exec_lo, s3
	global_load_b32 v26, v[7:8], off
	v_sub_nc_u32_e32 v3, 0, v0
	s_mov_b32 s38, 0
	s_delay_alu instid0(VALU_DEP_1) | instskip(NEXT) | instid1(VALU_DEP_1)
	v_max_i32_e32 v3, v0, v3
	v_mul_hi_u32 v9, v3, v16
	s_delay_alu instid0(VALU_DEP_1) | instskip(NEXT) | instid1(VALU_DEP_1)
	v_mul_lo_u32 v10, v9, s21
	v_sub_nc_u32_e32 v3, v3, v10
	s_delay_alu instid0(VALU_DEP_1) | instskip(SKIP_1) | instid1(VALU_DEP_2)
	v_subrev_nc_u32_e32 v12, s21, v3
	v_cmp_le_u32_e32 vcc_lo, s21, v3
	v_dual_cndmask_b32 v3, v3, v12 :: v_dual_add_nc_u32 v10, 1, v9
	s_delay_alu instid0(VALU_DEP_1) | instskip(SKIP_1) | instid1(VALU_DEP_3)
	v_cndmask_b32_e32 v9, v9, v10, vcc_lo
	v_ashrrev_i32_e32 v10, 31, v0
	v_cmp_le_u32_e32 vcc_lo, s21, v3
	s_delay_alu instid0(VALU_DEP_3) | instskip(NEXT) | instid1(VALU_DEP_3)
	v_add_nc_u32_e32 v12, 1, v9
	v_xor_b32_e32 v10, s25, v10
	s_delay_alu instid0(VALU_DEP_2) | instskip(NEXT) | instid1(VALU_DEP_1)
	v_cndmask_b32_e32 v3, v9, v12, vcc_lo
	v_xor_b32_e32 v3, v3, v10
	s_delay_alu instid0(VALU_DEP_1) | instskip(NEXT) | instid1(VALU_DEP_1)
	v_sub_nc_u32_e32 v3, v3, v10
	v_mul_lo_u32 v9, v3, s6
	v_mul_lo_u32 v3, v3, s4
	s_delay_alu instid0(VALU_DEP_2) | instskip(NEXT) | instid1(VALU_DEP_1)
	v_sub_nc_u32_e32 v0, v0, v9
	v_mul_lo_u32 v0, v0, s4
	s_delay_alu instid0(VALU_DEP_1) | instskip(NEXT) | instid1(VALU_DEP_1)
	v_sub_nc_u32_e32 v9, 0, v0
	v_max_i32_e32 v9, v0, v9
	v_ashrrev_i32_e32 v0, 31, v0
	s_delay_alu instid0(VALU_DEP_2) | instskip(NEXT) | instid1(VALU_DEP_2)
	v_mul_hi_u32 v10, v9, v16
	v_xor_b32_e32 v0, s25, v0
	s_delay_alu instid0(VALU_DEP_2) | instskip(NEXT) | instid1(VALU_DEP_1)
	v_mul_lo_u32 v12, v10, s21
	v_sub_nc_u32_e32 v9, v9, v12
	v_add_nc_u32_e32 v12, 1, v10
	s_delay_alu instid0(VALU_DEP_2) | instskip(SKIP_1) | instid1(VALU_DEP_2)
	v_subrev_nc_u32_e32 v27, s21, v9
	v_cmp_le_u32_e32 vcc_lo, s21, v9
	v_dual_cndmask_b32 v10, v10, v12 :: v_dual_cndmask_b32 v9, v9, v27
	s_delay_alu instid0(VALU_DEP_1) | instskip(NEXT) | instid1(VALU_DEP_2)
	v_add_nc_u32_e32 v12, 1, v10
	v_cmp_le_u32_e32 vcc_lo, s21, v9
	s_delay_alu instid0(VALU_DEP_2) | instskip(NEXT) | instid1(VALU_DEP_1)
	v_cndmask_b32_e32 v9, v10, v12, vcc_lo
	v_xor_b32_e32 v9, v9, v0
	s_delay_alu instid0(VALU_DEP_1) | instskip(SKIP_2) | instid1(VALU_DEP_2)
	v_sub_nc_u32_e32 v0, v9, v0
	v_not_b32_e32 v9, v11
	v_add_nc_u32_e32 v11, 1, v6
	v_add3_u32 v0, v0, v3, v9
	s_delay_alu instid0(VALU_DEP_1) | instskip(SKIP_1) | instid1(VALU_DEP_4)
	v_cvt_f32_i32_e32 v27, v0
	v_mov_b32_e32 v0, v6
	v_mad_i64_i32 v[9:10], null, s29, v11, -1
	s_branch .LBB15_24
.LBB15_23:                              ;   in Loop: Header=BB15_24 Depth=4
	s_or_b32 exec_lo, exec_lo, s3
	v_add_nc_u32_e32 v28, v24, v0
	v_sub_nc_u32_e32 v12, 0, v0
	v_not_b32_e32 v11, v11
	s_delay_alu instid0(VALU_DEP_3) | instskip(NEXT) | instid1(VALU_DEP_3)
	v_ashrrev_i32_e32 v29, 31, v28
	v_max_i32_e32 v12, v0, v12
	s_delay_alu instid0(VALU_DEP_2) | instskip(NEXT) | instid1(VALU_DEP_1)
	v_lshlrev_b64 v[28:29], 2, v[28:29]
	v_add_co_u32 v28, vcc_lo, s14, v28
	s_delay_alu instid0(VALU_DEP_2) | instskip(SKIP_2) | instid1(VALU_DEP_1)
	v_add_co_ci_u32_e32 v29, vcc_lo, s15, v29, vcc_lo
	global_load_b32 v3, v[28:29], off
	v_mul_hi_u32 v28, v12, v17
	v_mul_lo_u32 v29, v28, s22
	s_delay_alu instid0(VALU_DEP_1) | instskip(NEXT) | instid1(VALU_DEP_1)
	v_sub_nc_u32_e32 v12, v12, v29
	v_subrev_nc_u32_e32 v30, s22, v12
	v_cmp_le_u32_e32 vcc_lo, s22, v12
	s_delay_alu instid0(VALU_DEP_2) | instskip(NEXT) | instid1(VALU_DEP_1)
	v_dual_cndmask_b32 v12, v12, v30 :: v_dual_add_nc_u32 v29, 1, v28
	v_cndmask_b32_e32 v28, v28, v29, vcc_lo
	v_ashrrev_i32_e32 v29, 31, v0
	s_delay_alu instid0(VALU_DEP_3) | instskip(NEXT) | instid1(VALU_DEP_2)
	v_cmp_le_u32_e32 vcc_lo, s22, v12
	v_xor_b32_e32 v29, s27, v29
	s_waitcnt vmcnt(0)
	v_div_scale_f32 v31, null, v27, v27, v3
	s_delay_alu instid0(VALU_DEP_1) | instskip(SKIP_2) | instid1(VALU_DEP_1)
	v_rcp_f32_e32 v33, v31
	s_waitcnt_depctr 0xfff
	v_fma_f32 v35, -v31, v33, 1.0
	v_dual_fmac_f32 v33, v35, v33 :: v_dual_add_nc_u32 v30, 1, v28
	s_delay_alu instid0(VALU_DEP_1) | instskip(NEXT) | instid1(VALU_DEP_1)
	v_cndmask_b32_e32 v12, v28, v30, vcc_lo
	v_xor_b32_e32 v12, v12, v29
	s_delay_alu instid0(VALU_DEP_1) | instskip(NEXT) | instid1(VALU_DEP_1)
	v_sub_nc_u32_e32 v12, v12, v29
	v_mad_u64_u32 v[28:29], null, s31, v12, v[0:1]
	v_mul_lo_u32 v12, v12, s5
	v_add_nc_u32_e32 v0, 1, v0
	s_delay_alu instid0(VALU_DEP_3) | instskip(NEXT) | instid1(VALU_DEP_1)
	v_mul_lo_u32 v28, v28, s5
	v_sub_nc_u32_e32 v29, 0, v28
	s_delay_alu instid0(VALU_DEP_1) | instskip(SKIP_1) | instid1(VALU_DEP_2)
	v_max_i32_e32 v29, v28, v29
	v_ashrrev_i32_e32 v28, 31, v28
	v_mul_hi_u32 v30, v29, v17
	s_delay_alu instid0(VALU_DEP_2) | instskip(NEXT) | instid1(VALU_DEP_2)
	v_xor_b32_e32 v28, s27, v28
	v_mul_lo_u32 v32, v30, s22
	s_delay_alu instid0(VALU_DEP_1) | instskip(SKIP_1) | instid1(VALU_DEP_2)
	v_sub_nc_u32_e32 v29, v29, v32
	v_add_nc_u32_e32 v32, 1, v30
	v_subrev_nc_u32_e32 v34, s22, v29
	v_cmp_le_u32_e32 vcc_lo, s22, v29
	s_delay_alu instid0(VALU_DEP_3) | instskip(SKIP_1) | instid1(VALU_DEP_4)
	v_cndmask_b32_e32 v30, v30, v32, vcc_lo
	v_div_scale_f32 v32, s3, v3, v27, v3
	v_cndmask_b32_e32 v29, v29, v34, vcc_lo
	s_delay_alu instid0(VALU_DEP_2) | instskip(NEXT) | instid1(VALU_DEP_2)
	v_dual_mul_f32 v35, v32, v33 :: v_dual_add_nc_u32 v34, 1, v30
	v_cmp_le_u32_e32 vcc_lo, s22, v29
	s_delay_alu instid0(VALU_DEP_2) | instskip(NEXT) | instid1(VALU_DEP_3)
	v_cndmask_b32_e32 v29, v30, v34, vcc_lo
	v_fma_f32 v30, -v31, v35, v32
	s_mov_b32 vcc_lo, s3
	v_add_co_u32 v9, s3, v9, s29
	s_delay_alu instid0(VALU_DEP_3) | instskip(NEXT) | instid1(VALU_DEP_3)
	v_xor_b32_e32 v29, v29, v28
	v_fmac_f32_e32 v35, v30, v33
	v_add_co_ci_u32_e64 v10, s3, s28, v10, s3
	s_delay_alu instid0(VALU_DEP_3) | instskip(NEXT) | instid1(VALU_DEP_3)
	v_sub_nc_u32_e32 v28, v29, v28
	v_fma_f32 v29, -v31, v35, v32
	s_delay_alu instid0(VALU_DEP_2) | instskip(NEXT) | instid1(VALU_DEP_2)
	v_add3_u32 v11, v28, v12, v11
	v_div_fmas_f32 v12, v29, v33, v35
	s_delay_alu instid0(VALU_DEP_2) | instskip(NEXT) | instid1(VALU_DEP_2)
	v_cvt_f32_i32_e32 v11, v11
	v_div_fixup_f32 v3, v12, v27, v3
	s_delay_alu instid0(VALU_DEP_1) | instskip(SKIP_1) | instid1(VALU_DEP_2)
	v_div_scale_f32 v12, null, v11, v11, v3
	v_div_scale_f32 v30, vcc_lo, v3, v11, v3
	v_rcp_f32_e32 v28, v12
	s_waitcnt_depctr 0xfff
	v_fma_f32 v29, -v12, v28, 1.0
	s_delay_alu instid0(VALU_DEP_1) | instskip(NEXT) | instid1(VALU_DEP_1)
	v_fmac_f32_e32 v28, v29, v28
	v_mul_f32_e32 v29, v30, v28
	s_delay_alu instid0(VALU_DEP_1) | instskip(NEXT) | instid1(VALU_DEP_1)
	v_fma_f32 v31, -v12, v29, v30
	v_fmac_f32_e32 v29, v31, v28
	s_delay_alu instid0(VALU_DEP_1) | instskip(NEXT) | instid1(VALU_DEP_1)
	v_fma_f32 v12, -v12, v29, v30
	v_div_fmas_f32 v12, v12, v28, v29
	v_cmp_ge_i32_e32 vcc_lo, v0, v23
	s_delay_alu instid0(VALU_DEP_2) | instskip(SKIP_1) | instid1(VALU_DEP_1)
	v_div_fixup_f32 v3, v12, v11, v3
	s_or_b32 s38, vcc_lo, s38
	v_add_f32_e32 v26, v26, v3
	global_store_b32 v[7:8], v26, off
	s_and_not1_b32 exec_lo, exec_lo, s38
	s_cbranch_execz .LBB15_16
.LBB15_24:                              ;   Parent Loop BB15_3 Depth=1
                                        ;     Parent Loop BB15_10 Depth=2
                                        ;       Parent Loop BB15_17 Depth=3
                                        ; =>      This Inner Loop Header: Depth=4
	s_delay_alu instid0(VALU_DEP_1) | instskip(SKIP_1) | instid1(VALU_DEP_1)
	v_or_b32_e32 v3, s27, v10
                                        ; implicit-def: $vgpr11_vgpr12
	s_mov_b32 s3, exec_lo
	v_cmpx_ne_u64_e32 0, v[2:3]
	s_xor_b32 s39, exec_lo, s3
	s_cbranch_execz .LBB15_26
; %bb.25:                               ;   in Loop: Header=BB15_24 Depth=4
	s_add_u32 s10, s16, s27
	s_mov_b32 s8, s27
	s_mov_b32 s9, s27
	s_addc_u32 s11, s27, s27
	s_delay_alu instid0(SALU_CYCLE_1) | instskip(NEXT) | instid1(SALU_CYCLE_1)
	s_xor_b64 s[10:11], s[10:11], s[8:9]
	v_cvt_f32_u32_e32 v3, s10
	v_cvt_f32_u32_e32 v11, s11
	s_sub_u32 s3, 0, s10
	s_subb_u32 s9, 0, s11
	s_delay_alu instid0(VALU_DEP_1) | instskip(NEXT) | instid1(VALU_DEP_1)
	v_fmac_f32_e32 v3, 0x4f800000, v11
	v_rcp_f32_e32 v3, v3
	s_waitcnt_depctr 0xfff
	v_mul_f32_e32 v3, 0x5f7ffffc, v3
	s_delay_alu instid0(VALU_DEP_1) | instskip(NEXT) | instid1(VALU_DEP_1)
	v_mul_f32_e32 v11, 0x2f800000, v3
	v_trunc_f32_e32 v11, v11
	s_delay_alu instid0(VALU_DEP_1) | instskip(SKIP_1) | instid1(VALU_DEP_2)
	v_fmac_f32_e32 v3, 0xcf800000, v11
	v_cvt_u32_f32_e32 v11, v11
	v_cvt_u32_f32_e32 v3, v3
	s_delay_alu instid0(VALU_DEP_2) | instskip(NEXT) | instid1(VALU_DEP_2)
	v_mul_lo_u32 v12, s3, v11
	v_mul_hi_u32 v28, s3, v3
	v_mul_lo_u32 v29, s9, v3
	s_delay_alu instid0(VALU_DEP_2) | instskip(SKIP_1) | instid1(VALU_DEP_2)
	v_add_nc_u32_e32 v12, v28, v12
	v_mul_lo_u32 v28, s3, v3
	v_add_nc_u32_e32 v12, v12, v29
	s_delay_alu instid0(VALU_DEP_2) | instskip(NEXT) | instid1(VALU_DEP_2)
	v_mul_hi_u32 v29, v3, v28
	v_mul_lo_u32 v30, v3, v12
	v_mul_hi_u32 v31, v3, v12
	v_mul_hi_u32 v32, v11, v28
	v_mul_lo_u32 v28, v11, v28
	v_mul_hi_u32 v33, v11, v12
	v_mul_lo_u32 v12, v11, v12
	v_add_co_u32 v29, vcc_lo, v29, v30
	v_add_co_ci_u32_e32 v30, vcc_lo, 0, v31, vcc_lo
	s_delay_alu instid0(VALU_DEP_2) | instskip(NEXT) | instid1(VALU_DEP_2)
	v_add_co_u32 v28, vcc_lo, v29, v28
	v_add_co_ci_u32_e32 v28, vcc_lo, v30, v32, vcc_lo
	v_add_co_ci_u32_e32 v29, vcc_lo, 0, v33, vcc_lo
	v_ashrrev_i32_e32 v32, 31, v10
	s_delay_alu instid0(VALU_DEP_3) | instskip(NEXT) | instid1(VALU_DEP_3)
	v_add_co_u32 v12, vcc_lo, v28, v12
	v_add_co_ci_u32_e32 v28, vcc_lo, 0, v29, vcc_lo
	s_delay_alu instid0(VALU_DEP_2) | instskip(NEXT) | instid1(VALU_DEP_2)
	v_add_co_u32 v3, vcc_lo, v3, v12
	v_add_co_ci_u32_e32 v11, vcc_lo, v11, v28, vcc_lo
	s_delay_alu instid0(VALU_DEP_2) | instskip(SKIP_1) | instid1(VALU_DEP_3)
	v_mul_hi_u32 v12, s3, v3
	v_mul_lo_u32 v29, s9, v3
	v_mul_lo_u32 v28, s3, v11
	s_delay_alu instid0(VALU_DEP_1) | instskip(SKIP_1) | instid1(VALU_DEP_2)
	v_add_nc_u32_e32 v12, v12, v28
	v_mul_lo_u32 v28, s3, v3
	v_add_nc_u32_e32 v12, v12, v29
	s_delay_alu instid0(VALU_DEP_2) | instskip(NEXT) | instid1(VALU_DEP_2)
	v_mul_hi_u32 v29, v3, v28
	v_mul_lo_u32 v30, v3, v12
	v_mul_hi_u32 v31, v3, v12
	v_mul_hi_u32 v33, v11, v28
	v_mul_lo_u32 v28, v11, v28
	v_mul_hi_u32 v34, v11, v12
	v_mul_lo_u32 v12, v11, v12
	v_add_co_u32 v29, vcc_lo, v29, v30
	v_add_co_ci_u32_e32 v30, vcc_lo, 0, v31, vcc_lo
	s_delay_alu instid0(VALU_DEP_2) | instskip(NEXT) | instid1(VALU_DEP_2)
	v_add_co_u32 v28, vcc_lo, v29, v28
	v_add_co_ci_u32_e32 v28, vcc_lo, v30, v33, vcc_lo
	v_add_co_ci_u32_e32 v29, vcc_lo, 0, v34, vcc_lo
	v_add_co_u32 v30, vcc_lo, v9, v32
	v_add_co_ci_u32_e32 v31, vcc_lo, v10, v32, vcc_lo
	s_delay_alu instid0(VALU_DEP_4) | instskip(NEXT) | instid1(VALU_DEP_4)
	v_add_co_u32 v12, vcc_lo, v28, v12
	v_add_co_ci_u32_e32 v28, vcc_lo, 0, v29, vcc_lo
	s_delay_alu instid0(VALU_DEP_4) | instskip(NEXT) | instid1(VALU_DEP_3)
	v_xor_b32_e32 v33, v30, v32
	v_add_co_u32 v3, vcc_lo, v3, v12
	s_delay_alu instid0(VALU_DEP_3) | instskip(SKIP_1) | instid1(VALU_DEP_3)
	v_add_co_ci_u32_e32 v34, vcc_lo, v11, v28, vcc_lo
	v_xor_b32_e32 v35, v31, v32
	v_mul_hi_u32 v36, v33, v3
	s_delay_alu instid0(VALU_DEP_3) | instskip(NEXT) | instid1(VALU_DEP_3)
	v_mad_u64_u32 v[11:12], null, v33, v34, 0
	v_mad_u64_u32 v[28:29], null, v35, v3, 0
	;; [unrolled: 1-line block ×3, first 2 shown]
	s_delay_alu instid0(VALU_DEP_3) | instskip(NEXT) | instid1(VALU_DEP_4)
	v_add_co_u32 v3, vcc_lo, v36, v11
	v_add_co_ci_u32_e32 v11, vcc_lo, 0, v12, vcc_lo
	s_delay_alu instid0(VALU_DEP_2) | instskip(NEXT) | instid1(VALU_DEP_2)
	v_add_co_u32 v3, vcc_lo, v3, v28
	v_add_co_ci_u32_e32 v3, vcc_lo, v11, v29, vcc_lo
	v_add_co_ci_u32_e32 v11, vcc_lo, 0, v31, vcc_lo
	s_delay_alu instid0(VALU_DEP_2) | instskip(NEXT) | instid1(VALU_DEP_2)
	v_add_co_u32 v3, vcc_lo, v3, v30
	v_add_co_ci_u32_e32 v28, vcc_lo, 0, v11, vcc_lo
	s_delay_alu instid0(VALU_DEP_2) | instskip(SKIP_1) | instid1(VALU_DEP_3)
	v_mul_lo_u32 v29, s11, v3
	v_mad_u64_u32 v[11:12], null, s10, v3, 0
	v_mul_lo_u32 v28, s10, v28
	s_delay_alu instid0(VALU_DEP_2) | instskip(NEXT) | instid1(VALU_DEP_2)
	v_sub_co_u32 v11, vcc_lo, v33, v11
	v_add3_u32 v12, v12, v28, v29
	v_add_co_u32 v29, s3, v3, 2
	s_delay_alu instid0(VALU_DEP_2) | instskip(NEXT) | instid1(VALU_DEP_1)
	v_sub_nc_u32_e32 v28, v35, v12
	v_subrev_co_ci_u32_e64 v28, s3, s11, v28, vcc_lo
	v_sub_co_u32 v30, s3, v11, s10
	v_sub_co_ci_u32_e32 v12, vcc_lo, v35, v12, vcc_lo
	s_delay_alu instid0(VALU_DEP_3) | instskip(NEXT) | instid1(VALU_DEP_3)
	v_subrev_co_ci_u32_e64 v28, s3, 0, v28, s3
	v_cmp_le_u32_e32 vcc_lo, s10, v30
	v_cndmask_b32_e64 v30, 0, -1, vcc_lo
	s_delay_alu instid0(VALU_DEP_3)
	v_cmp_le_u32_e32 vcc_lo, s11, v28
	v_cndmask_b32_e64 v31, 0, -1, vcc_lo
	v_cmp_le_u32_e32 vcc_lo, s10, v11
	v_cndmask_b32_e64 v11, 0, -1, vcc_lo
	;; [unrolled: 2-line block ×3, first 2 shown]
	v_cmp_eq_u32_e32 vcc_lo, s11, v28
	v_cndmask_b32_e32 v28, v31, v30, vcc_lo
	v_add_co_u32 v30, vcc_lo, v3, 1
	v_cmp_eq_u32_e32 vcc_lo, s11, v12
	v_cndmask_b32_e32 v11, v33, v11, vcc_lo
	s_delay_alu instid0(VALU_DEP_4) | instskip(NEXT) | instid1(VALU_DEP_4)
	v_cmp_ne_u32_e32 vcc_lo, 0, v28
	v_cndmask_b32_e32 v12, v30, v29, vcc_lo
	s_delay_alu instid0(VALU_DEP_3) | instskip(SKIP_1) | instid1(VALU_DEP_3)
	v_cmp_ne_u32_e32 vcc_lo, 0, v11
	v_xor_b32_e32 v11, s8, v32
	v_cndmask_b32_e32 v3, v3, v12, vcc_lo
	s_delay_alu instid0(VALU_DEP_1) | instskip(NEXT) | instid1(VALU_DEP_1)
	v_xor_b32_e32 v3, v3, v11
	v_sub_co_u32 v11, vcc_lo, v3, v11
.LBB15_26:                              ;   in Loop: Header=BB15_24 Depth=4
	s_and_not1_saveexec_b32 s3, s39
	s_cbranch_execz .LBB15_23
; %bb.27:                               ;   in Loop: Header=BB15_24 Depth=4
	v_cvt_f32_u32_e32 v3, s16
	s_sub_i32 s8, 0, s16
	s_delay_alu instid0(VALU_DEP_1) | instskip(SKIP_2) | instid1(VALU_DEP_1)
	v_rcp_iflag_f32_e32 v3, v3
	s_waitcnt_depctr 0xfff
	v_mul_f32_e32 v3, 0x4f7ffffe, v3
	v_cvt_u32_f32_e32 v3, v3
	s_delay_alu instid0(VALU_DEP_1) | instskip(NEXT) | instid1(VALU_DEP_1)
	v_mul_lo_u32 v11, s8, v3
	v_mul_hi_u32 v11, v3, v11
	s_delay_alu instid0(VALU_DEP_1) | instskip(NEXT) | instid1(VALU_DEP_1)
	v_add_nc_u32_e32 v3, v3, v11
	v_mul_hi_u32 v3, v9, v3
	s_delay_alu instid0(VALU_DEP_1) | instskip(NEXT) | instid1(VALU_DEP_1)
	v_mul_lo_u32 v11, v3, s16
	v_sub_nc_u32_e32 v11, v9, v11
	s_delay_alu instid0(VALU_DEP_1) | instskip(SKIP_1) | instid1(VALU_DEP_2)
	v_subrev_nc_u32_e32 v28, s16, v11
	v_cmp_le_u32_e32 vcc_lo, s16, v11
	v_dual_cndmask_b32 v11, v11, v28 :: v_dual_add_nc_u32 v12, 1, v3
	s_delay_alu instid0(VALU_DEP_1) | instskip(NEXT) | instid1(VALU_DEP_2)
	v_cndmask_b32_e32 v3, v3, v12, vcc_lo
	v_cmp_le_u32_e32 vcc_lo, s16, v11
	s_delay_alu instid0(VALU_DEP_2) | instskip(NEXT) | instid1(VALU_DEP_1)
	v_add_nc_u32_e32 v12, 1, v3
	v_cndmask_b32_e32 v11, v3, v12, vcc_lo
	s_branch .LBB15_23
.LBB15_28:
	s_nop 0
	s_sendmsg sendmsg(MSG_DEALLOC_VGPRS)
	s_endpgm
	.section	.rodata,"a",@progbits
	.p2align	6, 0x0
	.amdhsa_kernel _ZN2at6native12_GLOBAL__N_126adaptive_average_gradinputIfEEvPT_PKS3_iiii
		.amdhsa_group_segment_fixed_size 0
		.amdhsa_private_segment_fixed_size 0
		.amdhsa_kernarg_size 288
		.amdhsa_user_sgpr_count 14
		.amdhsa_user_sgpr_dispatch_ptr 0
		.amdhsa_user_sgpr_queue_ptr 0
		.amdhsa_user_sgpr_kernarg_segment_ptr 1
		.amdhsa_user_sgpr_dispatch_id 0
		.amdhsa_user_sgpr_private_segment_size 0
		.amdhsa_wavefront_size32 1
		.amdhsa_uses_dynamic_stack 0
		.amdhsa_enable_private_segment 0
		.amdhsa_system_sgpr_workgroup_id_x 1
		.amdhsa_system_sgpr_workgroup_id_y 1
		.amdhsa_system_sgpr_workgroup_id_z 0
		.amdhsa_system_sgpr_workgroup_info 0
		.amdhsa_system_vgpr_workitem_id 1
		.amdhsa_next_free_vgpr 37
		.amdhsa_next_free_sgpr 40
		.amdhsa_reserve_vcc 1
		.amdhsa_float_round_mode_32 0
		.amdhsa_float_round_mode_16_64 0
		.amdhsa_float_denorm_mode_32 3
		.amdhsa_float_denorm_mode_16_64 3
		.amdhsa_dx10_clamp 1
		.amdhsa_ieee_mode 1
		.amdhsa_fp16_overflow 0
		.amdhsa_workgroup_processor_mode 1
		.amdhsa_memory_ordered 1
		.amdhsa_forward_progress 0
		.amdhsa_shared_vgpr_count 0
		.amdhsa_exception_fp_ieee_invalid_op 0
		.amdhsa_exception_fp_denorm_src 0
		.amdhsa_exception_fp_ieee_div_zero 0
		.amdhsa_exception_fp_ieee_overflow 0
		.amdhsa_exception_fp_ieee_underflow 0
		.amdhsa_exception_fp_ieee_inexact 0
		.amdhsa_exception_int_div_zero 0
	.end_amdhsa_kernel
	.section	.text._ZN2at6native12_GLOBAL__N_126adaptive_average_gradinputIfEEvPT_PKS3_iiii,"axG",@progbits,_ZN2at6native12_GLOBAL__N_126adaptive_average_gradinputIfEEvPT_PKS3_iiii,comdat
.Lfunc_end15:
	.size	_ZN2at6native12_GLOBAL__N_126adaptive_average_gradinputIfEEvPT_PKS3_iiii, .Lfunc_end15-_ZN2at6native12_GLOBAL__N_126adaptive_average_gradinputIfEEvPT_PKS3_iiii
                                        ; -- End function
	.section	.AMDGPU.csdata,"",@progbits
; Kernel info:
; codeLenInByte = 5840
; NumSgprs: 42
; NumVgprs: 37
; ScratchSize: 0
; MemoryBound: 0
; FloatMode: 240
; IeeeMode: 1
; LDSByteSize: 0 bytes/workgroup (compile time only)
; SGPRBlocks: 5
; VGPRBlocks: 4
; NumSGPRsForWavesPerEU: 42
; NumVGPRsForWavesPerEU: 37
; Occupancy: 16
; WaveLimiterHint : 0
; COMPUTE_PGM_RSRC2:SCRATCH_EN: 0
; COMPUTE_PGM_RSRC2:USER_SGPR: 14
; COMPUTE_PGM_RSRC2:TRAP_HANDLER: 0
; COMPUTE_PGM_RSRC2:TGID_X_EN: 1
; COMPUTE_PGM_RSRC2:TGID_Y_EN: 1
; COMPUTE_PGM_RSRC2:TGID_Z_EN: 0
; COMPUTE_PGM_RSRC2:TIDIG_COMP_CNT: 1
	.section	.text._ZN2at6native12_GLOBAL__N_133atomic_adaptive_average_gradinputIN3c104HalfEEEvPT_PKS5_iiii,"axG",@progbits,_ZN2at6native12_GLOBAL__N_133atomic_adaptive_average_gradinputIN3c104HalfEEEvPT_PKS5_iiii,comdat
	.globl	_ZN2at6native12_GLOBAL__N_133atomic_adaptive_average_gradinputIN3c104HalfEEEvPT_PKS5_iiii ; -- Begin function _ZN2at6native12_GLOBAL__N_133atomic_adaptive_average_gradinputIN3c104HalfEEEvPT_PKS5_iiii
	.p2align	8
	.type	_ZN2at6native12_GLOBAL__N_133atomic_adaptive_average_gradinputIN3c104HalfEEEvPT_PKS5_iiii,@function
_ZN2at6native12_GLOBAL__N_133atomic_adaptive_average_gradinputIN3c104HalfEEEvPT_PKS5_iiii: ; @_ZN2at6native12_GLOBAL__N_133atomic_adaptive_average_gradinputIN3c104HalfEEEvPT_PKS5_iiii
; %bb.0:
	s_clause 0x1
	s_load_b32 s7, s[0:1], 0x2c
	s_load_b128 s[8:11], s[0:1], 0x10
	v_bfe_u32 v3, v0, 10, 10
	s_add_u32 s4, s0, 32
	s_addc_u32 s5, s1, 0
	s_mov_b32 s2, exec_lo
	s_waitcnt lgkmcnt(0)
	s_lshr_b32 s12, s7, 16
	s_delay_alu instid0(SALU_CYCLE_1) | instskip(NEXT) | instid1(VALU_DEP_1)
	v_mad_u64_u32 v[1:2], null, s15, s12, v[3:4]
	v_cmpx_gt_i32_e64 s10, v1
	s_cbranch_execz .LBB16_26
; %bb.1:
	s_load_b128 s[0:3], s[0:1], 0x0
	s_mul_i32 s6, s14, s10
	s_mov_b32 s18, s10
	s_mul_i32 s16, s6, s11
	s_mul_i32 s6, s14, s8
	s_ashr_i32 s17, s16, 31
	s_mul_i32 s20, s6, s9
	s_lshl_b64 s[14:15], s[16:17], 1
	v_cvt_f32_u32_e32 v2, s18
	s_load_b32 s23, s[4:5], 0x4
	v_and_b32_e32 v0, 0x3ff, v0
	s_mov_b32 s6, s9
	s_mov_b32 s27, s11
	v_rcp_iflag_f32_e32 v2, v2
	s_mov_b32 s13, 0
	s_mov_b32 s28, 0
	s_waitcnt lgkmcnt(0)
	s_add_u32 s16, s2, s14
	s_addc_u32 s17, s3, s15
	s_ashr_i32 s21, s20, 31
	s_delay_alu instid0(SALU_CYCLE_1) | instskip(NEXT) | instid1(SALU_CYCLE_1)
	s_lshl_b64 s[2:3], s[20:21], 1
	s_add_u32 s19, s0, s2
	s_addc_u32 s20, s1, s3
	s_abs_i32 s21, s10
	s_abs_i32 s22, s11
	v_cvt_f32_u32_e32 v3, s21
	v_cvt_f32_u32_e32 v4, s22
	s_sub_i32 s0, 0, s10
	s_sub_i32 s1, 0, s21
	;; [unrolled: 1-line block ×3, first 2 shown]
	v_rcp_iflag_f32_e32 v3, v3
	v_rcp_iflag_f32_e32 v4, v4
	v_mul_f32_e32 v2, 0x4f7ffffe, v2
	s_mul_i32 s23, s23, s12
	s_and_b32 s24, s7, 0xffff
	s_ashr_i32 s25, s10, 31
	s_ashr_i32 s7, s9, 31
	s_ashr_i32 s26, s11, 31
	s_waitcnt_depctr 0xfff
	v_dual_mul_f32 v3, 0x4f7ffffe, v3 :: v_dual_mul_f32 v4, 0x4f7ffffe, v4
	v_cvt_u32_f32_e32 v2, v2
	s_delay_alu instid0(VALU_DEP_2) | instskip(SKIP_1) | instid1(VALU_DEP_4)
	v_cvt_u32_f32_e32 v5, v3
	v_mov_b32_e32 v3, 0
	v_cvt_u32_f32_e32 v4, v4
	s_delay_alu instid0(VALU_DEP_4) | instskip(SKIP_2) | instid1(VALU_DEP_4)
	v_mul_lo_u32 v6, s0, v2
	v_cmp_gt_i32_e64 s0, s11, v0
	v_mul_lo_u32 v7, s1, v5
	v_mul_lo_u32 v8, s2, v4
	s_delay_alu instid0(VALU_DEP_4) | instskip(NEXT) | instid1(VALU_DEP_3)
	v_mul_hi_u32 v6, v2, v6
	v_mul_hi_u32 v7, v5, v7
	s_delay_alu instid0(VALU_DEP_3) | instskip(NEXT) | instid1(VALU_DEP_3)
	v_mul_hi_u32 v8, v4, v8
	v_add_nc_u32_e32 v11, v2, v6
	s_delay_alu instid0(VALU_DEP_3) | instskip(NEXT) | instid1(VALU_DEP_3)
	v_add_nc_u32_e32 v9, v5, v7
	v_add_nc_u32_e32 v10, v4, v8
	s_branch .LBB16_3
.LBB16_2:                               ;   in Loop: Header=BB16_3 Depth=1
	s_or_b32 exec_lo, exec_lo, s29
	v_add_nc_u32_e32 v1, s23, v1
	s_delay_alu instid0(VALU_DEP_1) | instskip(SKIP_1) | instid1(SALU_CYCLE_1)
	v_cmp_le_i32_e32 vcc_lo, s10, v1
	s_or_b32 s28, vcc_lo, s28
	s_and_not1_b32 exec_lo, exec_lo, s28
	s_cbranch_execz .LBB16_26
.LBB16_3:                               ; =>This Loop Header: Depth=1
                                        ;     Child Loop BB16_10 Depth 2
                                        ;       Child Loop BB16_17 Depth 3
                                        ;         Child Loop BB16_20 Depth 4
                                        ;           Child Loop BB16_22 Depth 5
	s_and_saveexec_b32 s29, s0
	s_cbranch_execz .LBB16_2
; %bb.4:                                ;   in Loop: Header=BB16_3 Depth=1
	v_add_nc_u32_e32 v2, 1, v1
	v_mov_b32_e32 v6, v3
	s_delay_alu instid0(VALU_DEP_2) | instskip(NEXT) | instid1(VALU_DEP_1)
	v_mad_i64_i32 v[4:5], null, v2, s8, -1
	v_or_b32_e32 v7, s25, v5
	s_delay_alu instid0(VALU_DEP_1) | instskip(SKIP_1) | instid1(SALU_CYCLE_1)
	v_cmp_ne_u64_e32 vcc_lo, 0, v[6:7]
                                        ; implicit-def: $vgpr6_vgpr7
	s_and_saveexec_b32 s1, vcc_lo
	s_xor_b32 s12, exec_lo, s1
	s_cbranch_execz .LBB16_6
; %bb.5:                                ;   in Loop: Header=BB16_3 Depth=1
	s_add_u32 s4, s18, s25
	s_mov_b32 s2, s25
	s_mov_b32 s3, s25
	s_addc_u32 s5, s25, s25
	s_delay_alu instid0(SALU_CYCLE_1) | instskip(NEXT) | instid1(SALU_CYCLE_1)
	s_xor_b64 s[4:5], s[4:5], s[2:3]
	v_cvt_f32_u32_e32 v2, s4
	v_cvt_f32_u32_e32 v6, s5
	s_sub_u32 s1, 0, s4
	s_subb_u32 s3, 0, s5
	s_delay_alu instid0(VALU_DEP_1) | instskip(NEXT) | instid1(VALU_DEP_1)
	v_fmac_f32_e32 v2, 0x4f800000, v6
	v_rcp_f32_e32 v2, v2
	s_waitcnt_depctr 0xfff
	v_mul_f32_e32 v2, 0x5f7ffffc, v2
	s_delay_alu instid0(VALU_DEP_1) | instskip(NEXT) | instid1(VALU_DEP_1)
	v_mul_f32_e32 v6, 0x2f800000, v2
	v_trunc_f32_e32 v6, v6
	s_delay_alu instid0(VALU_DEP_1) | instskip(SKIP_1) | instid1(VALU_DEP_2)
	v_fmac_f32_e32 v2, 0xcf800000, v6
	v_cvt_u32_f32_e32 v6, v6
	v_cvt_u32_f32_e32 v2, v2
	s_delay_alu instid0(VALU_DEP_2) | instskip(NEXT) | instid1(VALU_DEP_2)
	v_mul_lo_u32 v7, s1, v6
	v_mul_hi_u32 v8, s1, v2
	v_mul_lo_u32 v12, s3, v2
	s_delay_alu instid0(VALU_DEP_2) | instskip(SKIP_1) | instid1(VALU_DEP_2)
	v_add_nc_u32_e32 v7, v8, v7
	v_mul_lo_u32 v8, s1, v2
	v_add_nc_u32_e32 v7, v7, v12
	s_delay_alu instid0(VALU_DEP_2) | instskip(NEXT) | instid1(VALU_DEP_2)
	v_mul_hi_u32 v12, v2, v8
	v_mul_lo_u32 v13, v2, v7
	v_mul_hi_u32 v14, v2, v7
	v_mul_hi_u32 v15, v6, v8
	v_mul_lo_u32 v8, v6, v8
	v_mul_hi_u32 v16, v6, v7
	v_mul_lo_u32 v7, v6, v7
	v_add_co_u32 v12, vcc_lo, v12, v13
	v_add_co_ci_u32_e32 v13, vcc_lo, 0, v14, vcc_lo
	s_delay_alu instid0(VALU_DEP_2) | instskip(NEXT) | instid1(VALU_DEP_2)
	v_add_co_u32 v8, vcc_lo, v12, v8
	v_add_co_ci_u32_e32 v8, vcc_lo, v13, v15, vcc_lo
	v_add_co_ci_u32_e32 v12, vcc_lo, 0, v16, vcc_lo
	v_ashrrev_i32_e32 v15, 31, v5
	s_delay_alu instid0(VALU_DEP_3) | instskip(NEXT) | instid1(VALU_DEP_3)
	v_add_co_u32 v7, vcc_lo, v8, v7
	v_add_co_ci_u32_e32 v8, vcc_lo, 0, v12, vcc_lo
	s_delay_alu instid0(VALU_DEP_2) | instskip(NEXT) | instid1(VALU_DEP_2)
	v_add_co_u32 v2, vcc_lo, v2, v7
	v_add_co_ci_u32_e32 v6, vcc_lo, v6, v8, vcc_lo
	s_delay_alu instid0(VALU_DEP_2) | instskip(SKIP_1) | instid1(VALU_DEP_3)
	v_mul_hi_u32 v7, s1, v2
	v_mul_lo_u32 v12, s3, v2
	v_mul_lo_u32 v8, s1, v6
	s_delay_alu instid0(VALU_DEP_1) | instskip(SKIP_1) | instid1(VALU_DEP_2)
	v_add_nc_u32_e32 v7, v7, v8
	v_mul_lo_u32 v8, s1, v2
	v_add_nc_u32_e32 v7, v7, v12
	s_delay_alu instid0(VALU_DEP_2) | instskip(NEXT) | instid1(VALU_DEP_2)
	v_mul_hi_u32 v12, v2, v8
	v_mul_lo_u32 v13, v2, v7
	v_mul_hi_u32 v14, v2, v7
	v_mul_hi_u32 v16, v6, v8
	v_mul_lo_u32 v8, v6, v8
	v_mul_hi_u32 v17, v6, v7
	v_mul_lo_u32 v7, v6, v7
	v_add_co_u32 v12, vcc_lo, v12, v13
	v_add_co_ci_u32_e32 v13, vcc_lo, 0, v14, vcc_lo
	s_delay_alu instid0(VALU_DEP_2) | instskip(NEXT) | instid1(VALU_DEP_2)
	v_add_co_u32 v8, vcc_lo, v12, v8
	v_add_co_ci_u32_e32 v8, vcc_lo, v13, v16, vcc_lo
	v_add_co_ci_u32_e32 v12, vcc_lo, 0, v17, vcc_lo
	v_add_co_u32 v4, vcc_lo, v4, v15
	v_add_co_ci_u32_e32 v5, vcc_lo, v5, v15, vcc_lo
	s_delay_alu instid0(VALU_DEP_4) | instskip(NEXT) | instid1(VALU_DEP_4)
	v_add_co_u32 v7, vcc_lo, v8, v7
	v_add_co_ci_u32_e32 v8, vcc_lo, 0, v12, vcc_lo
	s_delay_alu instid0(VALU_DEP_4) | instskip(NEXT) | instid1(VALU_DEP_3)
	v_xor_b32_e32 v14, v4, v15
	v_add_co_u32 v2, vcc_lo, v2, v7
	s_delay_alu instid0(VALU_DEP_3) | instskip(SKIP_1) | instid1(VALU_DEP_3)
	v_add_co_ci_u32_e32 v8, vcc_lo, v6, v8, vcc_lo
	v_xor_b32_e32 v16, v5, v15
	v_mul_hi_u32 v17, v14, v2
	s_delay_alu instid0(VALU_DEP_3) | instskip(NEXT) | instid1(VALU_DEP_3)
	v_mad_u64_u32 v[4:5], null, v14, v8, 0
	v_mad_u64_u32 v[6:7], null, v16, v2, 0
	;; [unrolled: 1-line block ×3, first 2 shown]
	s_delay_alu instid0(VALU_DEP_3) | instskip(NEXT) | instid1(VALU_DEP_4)
	v_add_co_u32 v2, vcc_lo, v17, v4
	v_add_co_ci_u32_e32 v4, vcc_lo, 0, v5, vcc_lo
	s_delay_alu instid0(VALU_DEP_2) | instskip(NEXT) | instid1(VALU_DEP_2)
	v_add_co_u32 v2, vcc_lo, v2, v6
	v_add_co_ci_u32_e32 v2, vcc_lo, v4, v7, vcc_lo
	v_add_co_ci_u32_e32 v4, vcc_lo, 0, v13, vcc_lo
	s_delay_alu instid0(VALU_DEP_2) | instskip(NEXT) | instid1(VALU_DEP_2)
	v_add_co_u32 v2, vcc_lo, v2, v12
	v_add_co_ci_u32_e32 v6, vcc_lo, 0, v4, vcc_lo
	s_delay_alu instid0(VALU_DEP_2) | instskip(SKIP_1) | instid1(VALU_DEP_3)
	v_mul_lo_u32 v7, s5, v2
	v_mad_u64_u32 v[4:5], null, s4, v2, 0
	v_mul_lo_u32 v6, s4, v6
	s_delay_alu instid0(VALU_DEP_2) | instskip(NEXT) | instid1(VALU_DEP_2)
	v_sub_co_u32 v4, vcc_lo, v14, v4
	v_add3_u32 v5, v5, v6, v7
	v_add_co_u32 v7, s1, v2, 2
	s_delay_alu instid0(VALU_DEP_2) | instskip(NEXT) | instid1(VALU_DEP_1)
	v_sub_nc_u32_e32 v6, v16, v5
	v_subrev_co_ci_u32_e64 v6, s1, s5, v6, vcc_lo
	v_sub_co_u32 v8, s1, v4, s4
	v_sub_co_ci_u32_e32 v5, vcc_lo, v16, v5, vcc_lo
	s_delay_alu instid0(VALU_DEP_3) | instskip(NEXT) | instid1(VALU_DEP_3)
	v_subrev_co_ci_u32_e64 v6, s1, 0, v6, s1
	v_cmp_le_u32_e32 vcc_lo, s4, v8
	v_cndmask_b32_e64 v8, 0, -1, vcc_lo
	s_delay_alu instid0(VALU_DEP_3)
	v_cmp_le_u32_e32 vcc_lo, s5, v6
	v_cndmask_b32_e64 v12, 0, -1, vcc_lo
	v_cmp_le_u32_e32 vcc_lo, s4, v4
	v_cndmask_b32_e64 v4, 0, -1, vcc_lo
	;; [unrolled: 2-line block ×3, first 2 shown]
	v_cmp_eq_u32_e32 vcc_lo, s5, v6
	v_cndmask_b32_e32 v6, v12, v8, vcc_lo
	v_add_co_u32 v8, vcc_lo, v2, 1
	v_cmp_eq_u32_e32 vcc_lo, s5, v5
	v_cndmask_b32_e32 v4, v13, v4, vcc_lo
	s_delay_alu instid0(VALU_DEP_4) | instskip(NEXT) | instid1(VALU_DEP_4)
	v_cmp_ne_u32_e32 vcc_lo, 0, v6
	v_cndmask_b32_e32 v5, v8, v7, vcc_lo
	s_delay_alu instid0(VALU_DEP_3) | instskip(SKIP_1) | instid1(VALU_DEP_3)
	v_cmp_ne_u32_e32 vcc_lo, 0, v4
	v_xor_b32_e32 v4, s2, v15
	v_cndmask_b32_e32 v2, v2, v5, vcc_lo
	s_delay_alu instid0(VALU_DEP_1) | instskip(NEXT) | instid1(VALU_DEP_1)
	v_xor_b32_e32 v2, v2, v4
	v_sub_co_u32 v6, vcc_lo, v2, v4
                                        ; implicit-def: $vgpr4_vgpr5
.LBB16_6:                               ;   in Loop: Header=BB16_3 Depth=1
	s_and_not1_saveexec_b32 s1, s12
; %bb.7:                                ;   in Loop: Header=BB16_3 Depth=1
	s_delay_alu instid0(VALU_DEP_3) | instskip(NEXT) | instid1(VALU_DEP_1)
	v_mul_hi_u32 v2, v4, v11
	v_mul_lo_u32 v5, v2, s18
	s_delay_alu instid0(VALU_DEP_1) | instskip(SKIP_1) | instid1(VALU_DEP_2)
	v_sub_nc_u32_e32 v4, v4, v5
	v_add_nc_u32_e32 v5, 1, v2
	v_subrev_nc_u32_e32 v6, s18, v4
	v_cmp_le_u32_e32 vcc_lo, s18, v4
	s_delay_alu instid0(VALU_DEP_2) | instskip(NEXT) | instid1(VALU_DEP_4)
	v_cndmask_b32_e32 v4, v4, v6, vcc_lo
	v_cndmask_b32_e32 v2, v2, v5, vcc_lo
	s_delay_alu instid0(VALU_DEP_2) | instskip(NEXT) | instid1(VALU_DEP_2)
	v_cmp_le_u32_e32 vcc_lo, s18, v4
	v_add_nc_u32_e32 v5, 1, v2
	s_delay_alu instid0(VALU_DEP_1)
	v_cndmask_b32_e32 v6, v2, v5, vcc_lo
; %bb.8:                                ;   in Loop: Header=BB16_3 Depth=1
	s_or_b32 exec_lo, exec_lo, s1
	v_sub_nc_u32_e32 v2, 0, v1
	s_mov_b32 s30, 0
	s_delay_alu instid0(VALU_DEP_1) | instskip(NEXT) | instid1(VALU_DEP_1)
	v_max_i32_e32 v2, v1, v2
	v_mul_hi_u32 v4, v2, v9
	s_delay_alu instid0(VALU_DEP_1) | instskip(NEXT) | instid1(VALU_DEP_1)
	v_mul_lo_u32 v5, v4, s21
	v_sub_nc_u32_e32 v2, v2, v5
	s_delay_alu instid0(VALU_DEP_1) | instskip(SKIP_1) | instid1(VALU_DEP_2)
	v_subrev_nc_u32_e32 v7, s21, v2
	v_cmp_le_u32_e32 vcc_lo, s21, v2
	v_dual_cndmask_b32 v2, v2, v7 :: v_dual_add_nc_u32 v5, 1, v4
	s_delay_alu instid0(VALU_DEP_1) | instskip(SKIP_1) | instid1(VALU_DEP_3)
	v_cndmask_b32_e32 v4, v4, v5, vcc_lo
	v_ashrrev_i32_e32 v5, 31, v1
	v_cmp_le_u32_e32 vcc_lo, s21, v2
	s_delay_alu instid0(VALU_DEP_3) | instskip(NEXT) | instid1(VALU_DEP_3)
	v_add_nc_u32_e32 v7, 1, v4
	v_xor_b32_e32 v5, s25, v5
	s_delay_alu instid0(VALU_DEP_2) | instskip(NEXT) | instid1(VALU_DEP_1)
	v_cndmask_b32_e32 v2, v4, v7, vcc_lo
	v_xor_b32_e32 v2, v2, v5
	s_delay_alu instid0(VALU_DEP_1) | instskip(NEXT) | instid1(VALU_DEP_1)
	v_sub_nc_u32_e32 v7, v2, v5
	v_mul_lo_u32 v2, v7, s10
	s_delay_alu instid0(VALU_DEP_1) | instskip(NEXT) | instid1(VALU_DEP_1)
	v_sub_nc_u32_e32 v2, v1, v2
	v_mul_lo_u32 v2, v2, s8
	s_delay_alu instid0(VALU_DEP_1) | instskip(NEXT) | instid1(VALU_DEP_1)
	v_sub_nc_u32_e32 v4, 0, v2
	v_max_i32_e32 v4, v2, v4
	v_ashrrev_i32_e32 v2, 31, v2
	s_delay_alu instid0(VALU_DEP_2) | instskip(NEXT) | instid1(VALU_DEP_2)
	v_mul_hi_u32 v5, v4, v9
	v_xor_b32_e32 v2, s25, v2
	s_delay_alu instid0(VALU_DEP_2) | instskip(NEXT) | instid1(VALU_DEP_1)
	v_mul_lo_u32 v8, v5, s21
	v_sub_nc_u32_e32 v4, v4, v8
	v_add_nc_u32_e32 v8, 1, v5
	s_delay_alu instid0(VALU_DEP_2) | instskip(SKIP_1) | instid1(VALU_DEP_3)
	v_subrev_nc_u32_e32 v12, s21, v4
	v_cmp_le_u32_e32 vcc_lo, s21, v4
	v_cndmask_b32_e32 v5, v5, v8, vcc_lo
	s_delay_alu instid0(VALU_DEP_3) | instskip(NEXT) | instid1(VALU_DEP_2)
	v_cndmask_b32_e32 v4, v4, v12, vcc_lo
	v_add_nc_u32_e32 v8, 1, v5
	s_delay_alu instid0(VALU_DEP_2) | instskip(NEXT) | instid1(VALU_DEP_2)
	v_cmp_le_u32_e32 vcc_lo, s21, v4
	v_cndmask_b32_e32 v4, v5, v8, vcc_lo
	s_delay_alu instid0(VALU_DEP_1) | instskip(NEXT) | instid1(VALU_DEP_1)
	v_xor_b32_e32 v4, v4, v2
	v_sub_nc_u32_e32 v2, v4, v2
	s_delay_alu instid0(VALU_DEP_1) | instskip(SKIP_1) | instid1(VALU_DEP_2)
	v_mad_u64_u32 v[4:5], null, v7, s8, v[2:3]
	v_mul_lo_u32 v5, v1, s11
	v_mul_lo_u32 v7, v4, s9
	v_sub_nc_u32_e32 v2, v6, v4
	s_delay_alu instid0(VALU_DEP_3) | instskip(NEXT) | instid1(VALU_DEP_2)
	v_ashrrev_i32_e32 v6, 31, v5
	v_add_nc_u32_e32 v14, 1, v2
	s_delay_alu instid0(VALU_DEP_2) | instskip(SKIP_2) | instid1(VALU_DEP_4)
	v_lshlrev_b64 v[4:5], 1, v[5:6]
	v_ashrrev_i32_e32 v8, 31, v7
	v_cmp_gt_u32_e64 s1, 0x7fffffff, v2
	v_cvt_f32_i32_e32 v15, v14
	v_max_i32_e32 v14, 1, v14
	s_delay_alu instid0(VALU_DEP_4) | instskip(SKIP_3) | instid1(VALU_DEP_4)
	v_lshlrev_b64 v[6:7], 1, v[7:8]
	v_add_co_u32 v12, vcc_lo, s16, v4
	v_mov_b32_e32 v4, v0
	v_add_co_ci_u32_e32 v13, vcc_lo, s17, v5, vcc_lo
	v_add_co_u32 v16, vcc_lo, s19, v6
	v_cvt_f16_f32_e32 v15, v15
	v_add_co_ci_u32_e32 v17, vcc_lo, s20, v7, vcc_lo
	s_branch .LBB16_10
.LBB16_9:                               ;   in Loop: Header=BB16_10 Depth=2
	s_or_b32 exec_lo, exec_lo, s5
	v_add_nc_u32_e32 v4, s24, v4
	s_delay_alu instid0(VALU_DEP_1) | instskip(SKIP_1) | instid1(SALU_CYCLE_1)
	v_cmp_le_i32_e32 vcc_lo, s11, v4
	s_or_b32 s30, vcc_lo, s30
	s_and_not1_b32 exec_lo, exec_lo, s30
	s_cbranch_execz .LBB16_2
.LBB16_10:                              ;   Parent Loop BB16_3 Depth=1
                                        ; =>  This Loop Header: Depth=2
                                        ;       Child Loop BB16_17 Depth 3
                                        ;         Child Loop BB16_20 Depth 4
                                        ;           Child Loop BB16_22 Depth 5
	v_add_nc_u32_e32 v8, 1, v4
	s_delay_alu instid0(VALU_DEP_1) | instskip(NEXT) | instid1(VALU_DEP_1)
	v_mad_u64_u32 v[5:6], null, v8, s6, -1
	v_mov_b32_e32 v2, v6
	s_delay_alu instid0(VALU_DEP_1) | instskip(NEXT) | instid1(VALU_DEP_1)
	v_mad_u64_u32 v[6:7], null, v8, s7, v[2:3]
	v_mov_b32_e32 v2, v6
	v_mov_b32_e32 v6, v3
	s_delay_alu instid0(VALU_DEP_2) | instskip(NEXT) | instid1(VALU_DEP_1)
	v_or_b32_e32 v7, s26, v2
	v_cmp_ne_u64_e32 vcc_lo, 0, v[6:7]
                                        ; implicit-def: $vgpr7_vgpr8
	s_and_saveexec_b32 s2, vcc_lo
	s_delay_alu instid0(SALU_CYCLE_1)
	s_xor_b32 s3, exec_lo, s2
	s_cbranch_execnz .LBB16_13
; %bb.11:                               ;   in Loop: Header=BB16_10 Depth=2
	s_and_not1_saveexec_b32 s2, s3
	s_cbranch_execnz .LBB16_14
.LBB16_12:                              ;   in Loop: Header=BB16_10 Depth=2
	s_or_b32 exec_lo, exec_lo, s2
	v_mov_b32_e32 v5, v3
	s_and_saveexec_b32 s5, s1
	s_cbranch_execz .LBB16_9
	s_branch .LBB16_15
.LBB16_13:                              ;   in Loop: Header=BB16_10 Depth=2
	s_add_u32 s14, s27, s26
	s_mov_b32 s4, s26
	s_mov_b32 s5, s26
	s_addc_u32 s15, s26, s26
	s_delay_alu instid0(SALU_CYCLE_1) | instskip(NEXT) | instid1(SALU_CYCLE_1)
	s_xor_b64 s[14:15], s[14:15], s[4:5]
	v_cvt_f32_u32_e32 v6, s14
	v_cvt_f32_u32_e32 v7, s15
	s_sub_u32 s2, 0, s14
	s_subb_u32 s5, 0, s15
	s_delay_alu instid0(VALU_DEP_1) | instskip(NEXT) | instid1(VALU_DEP_1)
	v_fmac_f32_e32 v6, 0x4f800000, v7
	v_rcp_f32_e32 v6, v6
	s_waitcnt_depctr 0xfff
	v_mul_f32_e32 v6, 0x5f7ffffc, v6
	s_delay_alu instid0(VALU_DEP_1) | instskip(NEXT) | instid1(VALU_DEP_1)
	v_mul_f32_e32 v7, 0x2f800000, v6
	v_trunc_f32_e32 v7, v7
	s_delay_alu instid0(VALU_DEP_1) | instskip(SKIP_1) | instid1(VALU_DEP_2)
	v_fmac_f32_e32 v6, 0xcf800000, v7
	v_cvt_u32_f32_e32 v7, v7
	v_cvt_u32_f32_e32 v6, v6
	s_delay_alu instid0(VALU_DEP_2) | instskip(NEXT) | instid1(VALU_DEP_2)
	v_mul_lo_u32 v8, s2, v7
	v_mul_hi_u32 v18, s2, v6
	v_mul_lo_u32 v19, s5, v6
	s_delay_alu instid0(VALU_DEP_2) | instskip(SKIP_1) | instid1(VALU_DEP_2)
	v_add_nc_u32_e32 v8, v18, v8
	v_mul_lo_u32 v18, s2, v6
	v_add_nc_u32_e32 v8, v8, v19
	s_delay_alu instid0(VALU_DEP_2) | instskip(NEXT) | instid1(VALU_DEP_2)
	v_mul_hi_u32 v19, v6, v18
	v_mul_lo_u32 v20, v6, v8
	v_mul_hi_u32 v21, v6, v8
	v_mul_hi_u32 v22, v7, v18
	v_mul_lo_u32 v18, v7, v18
	v_mul_hi_u32 v23, v7, v8
	v_mul_lo_u32 v8, v7, v8
	v_add_co_u32 v19, vcc_lo, v19, v20
	v_add_co_ci_u32_e32 v20, vcc_lo, 0, v21, vcc_lo
	s_delay_alu instid0(VALU_DEP_2) | instskip(NEXT) | instid1(VALU_DEP_2)
	v_add_co_u32 v18, vcc_lo, v19, v18
	v_add_co_ci_u32_e32 v18, vcc_lo, v20, v22, vcc_lo
	v_add_co_ci_u32_e32 v19, vcc_lo, 0, v23, vcc_lo
	v_ashrrev_i32_e32 v22, 31, v2
	s_delay_alu instid0(VALU_DEP_3) | instskip(NEXT) | instid1(VALU_DEP_3)
	v_add_co_u32 v8, vcc_lo, v18, v8
	v_add_co_ci_u32_e32 v18, vcc_lo, 0, v19, vcc_lo
	s_delay_alu instid0(VALU_DEP_2) | instskip(NEXT) | instid1(VALU_DEP_2)
	v_add_co_u32 v6, vcc_lo, v6, v8
	v_add_co_ci_u32_e32 v7, vcc_lo, v7, v18, vcc_lo
	s_delay_alu instid0(VALU_DEP_2) | instskip(SKIP_1) | instid1(VALU_DEP_3)
	v_mul_hi_u32 v8, s2, v6
	v_mul_lo_u32 v19, s5, v6
	v_mul_lo_u32 v18, s2, v7
	s_delay_alu instid0(VALU_DEP_1) | instskip(SKIP_1) | instid1(VALU_DEP_2)
	v_add_nc_u32_e32 v8, v8, v18
	v_mul_lo_u32 v18, s2, v6
	v_add_nc_u32_e32 v8, v8, v19
	s_delay_alu instid0(VALU_DEP_2) | instskip(NEXT) | instid1(VALU_DEP_2)
	v_mul_hi_u32 v19, v6, v18
	v_mul_lo_u32 v20, v6, v8
	v_mul_hi_u32 v21, v6, v8
	v_mul_hi_u32 v23, v7, v18
	v_mul_lo_u32 v18, v7, v18
	v_mul_hi_u32 v24, v7, v8
	v_mul_lo_u32 v8, v7, v8
	v_add_co_u32 v19, vcc_lo, v19, v20
	v_add_co_ci_u32_e32 v20, vcc_lo, 0, v21, vcc_lo
	s_delay_alu instid0(VALU_DEP_2) | instskip(NEXT) | instid1(VALU_DEP_2)
	v_add_co_u32 v18, vcc_lo, v19, v18
	v_add_co_ci_u32_e32 v18, vcc_lo, v20, v23, vcc_lo
	v_add_co_ci_u32_e32 v19, vcc_lo, 0, v24, vcc_lo
	v_add_co_u32 v5, vcc_lo, v5, v22
	v_add_co_ci_u32_e32 v2, vcc_lo, v2, v22, vcc_lo
	s_delay_alu instid0(VALU_DEP_4) | instskip(NEXT) | instid1(VALU_DEP_4)
	v_add_co_u32 v8, vcc_lo, v18, v8
	v_add_co_ci_u32_e32 v18, vcc_lo, 0, v19, vcc_lo
	s_delay_alu instid0(VALU_DEP_4) | instskip(NEXT) | instid1(VALU_DEP_3)
	v_xor_b32_e32 v20, v5, v22
	v_add_co_u32 v19, vcc_lo, v6, v8
	s_delay_alu instid0(VALU_DEP_3) | instskip(SKIP_1) | instid1(VALU_DEP_3)
	v_add_co_ci_u32_e32 v21, vcc_lo, v7, v18, vcc_lo
	v_xor_b32_e32 v2, v2, v22
	v_mul_hi_u32 v23, v20, v19
	s_delay_alu instid0(VALU_DEP_3) | instskip(NEXT) | instid1(VALU_DEP_3)
	v_mad_u64_u32 v[5:6], null, v20, v21, 0
	v_mad_u64_u32 v[7:8], null, v2, v19, 0
	;; [unrolled: 1-line block ×3, first 2 shown]
	s_delay_alu instid0(VALU_DEP_3) | instskip(NEXT) | instid1(VALU_DEP_4)
	v_add_co_u32 v5, vcc_lo, v23, v5
	v_add_co_ci_u32_e32 v6, vcc_lo, 0, v6, vcc_lo
	s_delay_alu instid0(VALU_DEP_2) | instskip(NEXT) | instid1(VALU_DEP_2)
	v_add_co_u32 v5, vcc_lo, v5, v7
	v_add_co_ci_u32_e32 v5, vcc_lo, v6, v8, vcc_lo
	v_add_co_ci_u32_e32 v6, vcc_lo, 0, v19, vcc_lo
	s_delay_alu instid0(VALU_DEP_2) | instskip(NEXT) | instid1(VALU_DEP_2)
	v_add_co_u32 v7, vcc_lo, v5, v18
	v_add_co_ci_u32_e32 v8, vcc_lo, 0, v6, vcc_lo
	s_delay_alu instid0(VALU_DEP_2) | instskip(SKIP_1) | instid1(VALU_DEP_3)
	v_mul_lo_u32 v18, s15, v7
	v_mad_u64_u32 v[5:6], null, s14, v7, 0
	v_mul_lo_u32 v8, s14, v8
	s_delay_alu instid0(VALU_DEP_2) | instskip(NEXT) | instid1(VALU_DEP_2)
	v_sub_co_u32 v5, vcc_lo, v20, v5
	v_add3_u32 v6, v6, v8, v18
	v_add_co_u32 v18, s2, v7, 2
	s_delay_alu instid0(VALU_DEP_2) | instskip(NEXT) | instid1(VALU_DEP_1)
	v_sub_nc_u32_e32 v8, v2, v6
	v_subrev_co_ci_u32_e64 v8, s2, s15, v8, vcc_lo
	v_sub_co_u32 v19, s2, v5, s14
	v_sub_co_ci_u32_e32 v2, vcc_lo, v2, v6, vcc_lo
	s_delay_alu instid0(VALU_DEP_3) | instskip(NEXT) | instid1(VALU_DEP_3)
	v_subrev_co_ci_u32_e64 v8, s2, 0, v8, s2
	v_cmp_le_u32_e32 vcc_lo, s14, v19
	v_cndmask_b32_e64 v6, 0, -1, vcc_lo
	s_delay_alu instid0(VALU_DEP_3)
	v_cmp_le_u32_e32 vcc_lo, s15, v8
	v_cndmask_b32_e64 v19, 0, -1, vcc_lo
	v_cmp_le_u32_e32 vcc_lo, s14, v5
	v_cndmask_b32_e64 v5, 0, -1, vcc_lo
	;; [unrolled: 2-line block ×3, first 2 shown]
	v_cmp_eq_u32_e32 vcc_lo, s15, v8
	v_cndmask_b32_e32 v6, v19, v6, vcc_lo
	v_add_co_u32 v8, vcc_lo, v7, 1
	v_cmp_eq_u32_e32 vcc_lo, s15, v2
	v_cndmask_b32_e32 v2, v20, v5, vcc_lo
	s_delay_alu instid0(VALU_DEP_4) | instskip(NEXT) | instid1(VALU_DEP_4)
	v_cmp_ne_u32_e32 vcc_lo, 0, v6
	v_cndmask_b32_e32 v5, v8, v18, vcc_lo
	s_delay_alu instid0(VALU_DEP_3) | instskip(NEXT) | instid1(VALU_DEP_2)
	v_cmp_ne_u32_e32 vcc_lo, 0, v2
	v_cndmask_b32_e32 v2, v7, v5, vcc_lo
	v_xor_b32_e32 v5, s4, v22
	s_delay_alu instid0(VALU_DEP_1) | instskip(NEXT) | instid1(VALU_DEP_1)
	v_xor_b32_e32 v2, v2, v5
	v_sub_co_u32 v7, vcc_lo, v2, v5
                                        ; implicit-def: $vgpr5_vgpr6
	s_and_not1_saveexec_b32 s2, s3
	s_cbranch_execz .LBB16_12
.LBB16_14:                              ;   in Loop: Header=BB16_10 Depth=2
	v_cvt_f32_u32_e32 v2, s27
	s_sub_i32 s3, 0, s27
	s_delay_alu instid0(VALU_DEP_1) | instskip(SKIP_2) | instid1(VALU_DEP_1)
	v_rcp_iflag_f32_e32 v2, v2
	s_waitcnt_depctr 0xfff
	v_mul_f32_e32 v2, 0x4f7ffffe, v2
	v_cvt_u32_f32_e32 v2, v2
	s_delay_alu instid0(VALU_DEP_1) | instskip(NEXT) | instid1(VALU_DEP_1)
	v_mul_lo_u32 v6, s3, v2
	v_mul_hi_u32 v6, v2, v6
	s_delay_alu instid0(VALU_DEP_1) | instskip(NEXT) | instid1(VALU_DEP_1)
	v_add_nc_u32_e32 v2, v2, v6
	v_mul_hi_u32 v2, v5, v2
	s_delay_alu instid0(VALU_DEP_1) | instskip(NEXT) | instid1(VALU_DEP_1)
	v_mul_lo_u32 v6, v2, s27
	v_sub_nc_u32_e32 v5, v5, v6
	v_add_nc_u32_e32 v6, 1, v2
	s_delay_alu instid0(VALU_DEP_2) | instskip(SKIP_1) | instid1(VALU_DEP_2)
	v_subrev_nc_u32_e32 v7, s27, v5
	v_cmp_le_u32_e32 vcc_lo, s27, v5
	v_dual_cndmask_b32 v5, v5, v7 :: v_dual_cndmask_b32 v2, v2, v6
	s_delay_alu instid0(VALU_DEP_1) | instskip(NEXT) | instid1(VALU_DEP_2)
	v_cmp_le_u32_e32 vcc_lo, s27, v5
	v_add_nc_u32_e32 v6, 1, v2
	s_delay_alu instid0(VALU_DEP_1)
	v_cndmask_b32_e32 v7, v2, v6, vcc_lo
	s_or_b32 exec_lo, exec_lo, s2
	v_mov_b32_e32 v5, v3
	s_and_saveexec_b32 s5, s1
	s_cbranch_execz .LBB16_9
.LBB16_15:                              ;   in Loop: Header=BB16_10 Depth=2
	s_delay_alu instid0(VALU_DEP_1) | instskip(SKIP_3) | instid1(VALU_DEP_2)
	v_lshlrev_b64 v[5:6], 1, v[4:5]
	v_mul_lo_u32 v2, v4, s9
	s_mov_b32 s14, 0
	s_mov_b32 s15, 0
	v_add_co_u32 v5, vcc_lo, v12, v5
	s_delay_alu instid0(VALU_DEP_3) | instskip(SKIP_3) | instid1(VALU_DEP_2)
	v_add_co_ci_u32_e32 v6, vcc_lo, v13, v6, vcc_lo
	global_load_u16 v8, v[5:6], off
	v_sub_nc_u32_e32 v5, 0, v2
	v_mul_hi_u32 v6, v4, v10
	v_max_i32_e32 v5, v2, v5
	v_ashrrev_i32_e32 v2, 31, v2
	s_delay_alu instid0(VALU_DEP_3) | instskip(NEXT) | instid1(VALU_DEP_3)
	v_mul_lo_u32 v19, v6, s22
	v_mul_hi_u32 v18, v5, v10
	v_add_nc_u32_e32 v21, 1, v6
	s_delay_alu instid0(VALU_DEP_4) | instskip(NEXT) | instid1(VALU_DEP_4)
	v_xor_b32_e32 v2, s26, v2
	v_sub_nc_u32_e32 v19, v4, v19
	s_delay_alu instid0(VALU_DEP_4) | instskip(NEXT) | instid1(VALU_DEP_2)
	v_mul_lo_u32 v20, v18, s22
	v_cmp_le_u32_e32 vcc_lo, s22, v19
	s_delay_alu instid0(VALU_DEP_2) | instskip(SKIP_3) | instid1(VALU_DEP_4)
	v_sub_nc_u32_e32 v5, v5, v20
	v_cndmask_b32_e32 v6, v6, v21, vcc_lo
	v_subrev_nc_u32_e32 v21, s22, v19
	v_add_nc_u32_e32 v20, 1, v18
	v_cmp_le_u32_e64 s2, s22, v5
	v_subrev_nc_u32_e32 v22, s22, v5
	s_delay_alu instid0(VALU_DEP_4) | instskip(NEXT) | instid1(VALU_DEP_3)
	v_cndmask_b32_e32 v19, v19, v21, vcc_lo
	v_cndmask_b32_e64 v18, v18, v20, s2
	s_delay_alu instid0(VALU_DEP_3) | instskip(NEXT) | instid1(VALU_DEP_3)
	v_cndmask_b32_e64 v5, v5, v22, s2
	v_cmp_le_u32_e32 vcc_lo, s22, v19
	s_delay_alu instid0(VALU_DEP_3) | instskip(SKIP_1) | instid1(VALU_DEP_1)
	v_add_nc_u32_e32 v21, 1, v18
	v_add_nc_u32_e32 v20, 1, v6
	v_cndmask_b32_e32 v6, v6, v20, vcc_lo
	v_cmp_le_u32_e32 vcc_lo, s22, v5
	s_delay_alu instid0(VALU_DEP_2) | instskip(SKIP_1) | instid1(VALU_DEP_2)
	v_xor_b32_e32 v6, s26, v6
	v_cndmask_b32_e32 v5, v18, v21, vcc_lo
	v_subrev_nc_u32_e32 v18, s26, v6
	s_delay_alu instid0(VALU_DEP_2) | instskip(NEXT) | instid1(VALU_DEP_1)
	v_xor_b32_e32 v5, v5, v2
	v_sub_nc_u32_e32 v2, v5, v2
	s_delay_alu instid0(VALU_DEP_1) | instskip(NEXT) | instid1(VALU_DEP_1)
	v_mad_u64_u32 v[5:6], null, v18, s9, v[2:3]
	v_sub_nc_u32_e32 v2, v7, v5
	s_delay_alu instid0(VALU_DEP_1) | instskip(SKIP_1) | instid1(VALU_DEP_2)
	v_add_nc_u32_e32 v7, 1, v2
	v_cmp_gt_u32_e32 vcc_lo, 0x7fffffff, v2
	v_cvt_f32_i32_e32 v6, v7
	s_delay_alu instid0(VALU_DEP_1) | instskip(NEXT) | instid1(VALU_DEP_1)
	v_cvt_f16_f32_e32 v6, v6
	v_cvt_f32_f16_e32 v18, v6
	s_delay_alu instid0(VALU_DEP_1) | instskip(SKIP_4) | instid1(VALU_DEP_1)
	v_rcp_f32_e32 v18, v18
	s_waitcnt vmcnt(0)
	v_cvt_f32_f16_e32 v19, v8
	s_waitcnt_depctr 0xfff
	v_mul_f32_e32 v19, v19, v18
	v_fma_mix_f32 v20, -v6, v19, v8 op_sel_hi:[1,0,1]
	s_delay_alu instid0(VALU_DEP_1) | instskip(NEXT) | instid1(VALU_DEP_1)
	v_fmac_f32_e32 v19, v20, v18
	v_fma_mix_f32 v20, -v6, v19, v8 op_sel_hi:[1,0,1]
	s_delay_alu instid0(VALU_DEP_1) | instskip(NEXT) | instid1(VALU_DEP_1)
	v_mul_f32_e32 v18, v20, v18
	v_and_b32_e32 v18, 0xff800000, v18
	s_delay_alu instid0(VALU_DEP_1) | instskip(SKIP_2) | instid1(VALU_DEP_3)
	v_add_f32_e32 v18, v18, v19
	v_cvt_f32_f16_e32 v19, v15
	v_max_i32_e32 v21, 1, v7
	v_cvt_f16_f32_e32 v18, v18
	s_delay_alu instid0(VALU_DEP_3) | instskip(NEXT) | instid1(VALU_DEP_1)
	v_rcp_f32_e32 v19, v19
	v_div_fixup_f16 v8, v18, v6, v8
	s_delay_alu instid0(VALU_DEP_1) | instskip(SKIP_2) | instid1(VALU_DEP_1)
	v_cvt_f32_f16_e32 v6, v8
	s_waitcnt_depctr 0xfff
	v_mul_f32_e32 v18, v6, v19
	v_fma_mix_f32 v6, -v15, v18, v8 op_sel_hi:[1,0,1]
	s_delay_alu instid0(VALU_DEP_1) | instskip(NEXT) | instid1(VALU_DEP_1)
	v_fmac_f32_e32 v18, v6, v19
	v_fma_mix_f32 v6, -v15, v18, v8 op_sel_hi:[1,0,1]
	s_delay_alu instid0(VALU_DEP_1) | instskip(NEXT) | instid1(VALU_DEP_1)
	v_mul_f32_e32 v6, v6, v19
	v_and_b32_e32 v19, 0xff800000, v6
	v_ashrrev_i32_e32 v6, 31, v5
	s_delay_alu instid0(VALU_DEP_2) | instskip(NEXT) | instid1(VALU_DEP_2)
	v_add_f32_e32 v18, v19, v18
	v_lshlrev_b64 v[5:6], 1, v[5:6]
	s_delay_alu instid0(VALU_DEP_2) | instskip(NEXT) | instid1(VALU_DEP_2)
	v_cvt_f16_f32_e32 v2, v18
	v_add_co_u32 v18, s2, v16, v5
	s_delay_alu instid0(VALU_DEP_1) | instskip(NEXT) | instid1(VALU_DEP_3)
	v_add_co_ci_u32_e64 v19, s2, v17, v6, s2
	v_div_fixup_f16 v20, v2, v15, v8
	s_branch .LBB16_17
.LBB16_16:                              ;   in Loop: Header=BB16_17 Depth=3
	s_or_b32 exec_lo, exec_lo, s31
	s_add_i32 s15, s15, 1
	s_lshl_b64 s[34:35], s[6:7], 1
	v_cmp_eq_u32_e64 s2, s15, v14
	v_add_co_u32 v18, s3, v18, s34
	s_delay_alu instid0(VALU_DEP_1) | instskip(NEXT) | instid1(VALU_DEP_3)
	v_add_co_ci_u32_e64 v19, s3, s35, v19, s3
	s_or_b32 s14, s2, s14
	s_delay_alu instid0(SALU_CYCLE_1)
	s_and_not1_b32 exec_lo, exec_lo, s14
	s_cbranch_execz .LBB16_9
.LBB16_17:                              ;   Parent Loop BB16_3 Depth=1
                                        ;     Parent Loop BB16_10 Depth=2
                                        ; =>    This Loop Header: Depth=3
                                        ;         Child Loop BB16_20 Depth 4
                                        ;           Child Loop BB16_22 Depth 5
	s_and_saveexec_b32 s31, vcc_lo
	s_cbranch_execz .LBB16_16
; %bb.18:                               ;   in Loop: Header=BB16_17 Depth=3
	s_mov_b32 s33, 0
	s_delay_alu instid0(SALU_CYCLE_1)
	s_mov_b32 s12, s33
	s_branch .LBB16_20
.LBB16_19:                              ;   in Loop: Header=BB16_20 Depth=4
	s_set_inst_prefetch_distance 0x2
	s_or_b32 exec_lo, exec_lo, s34
	s_add_i32 s12, s12, 1
	s_delay_alu instid0(SALU_CYCLE_1) | instskip(NEXT) | instid1(VALU_DEP_1)
	v_cmp_eq_u32_e64 s2, s12, v21
	s_or_b32 s33, s2, s33
	s_delay_alu instid0(SALU_CYCLE_1)
	s_and_not1_b32 exec_lo, exec_lo, s33
	s_cbranch_execz .LBB16_16
.LBB16_20:                              ;   Parent Loop BB16_3 Depth=1
                                        ;     Parent Loop BB16_10 Depth=2
                                        ;       Parent Loop BB16_17 Depth=3
                                        ; =>      This Loop Header: Depth=4
                                        ;           Child Loop BB16_22 Depth 5
	s_lshl_b64 s[2:3], s[12:13], 1
	s_mov_b32 s34, 0
	v_add_co_u32 v2, s2, v18, s2
	s_delay_alu instid0(VALU_DEP_1) | instskip(NEXT) | instid1(VALU_DEP_2)
	v_add_co_ci_u32_e64 v6, s2, s3, v19, s2
	v_and_b32_e32 v5, -3, v2
	v_and_b32_e32 v2, 2, v2
	global_load_b32 v8, v[5:6], off
	v_cmp_eq_u64_e64 s2, 0, v[2:3]
	v_cmp_ne_u32_e64 s3, 0, v2
	s_set_inst_prefetch_distance 0x1
	s_branch .LBB16_22
	.p2align	6
.LBB16_21:                              ;   in Loop: Header=BB16_22 Depth=5
	s_or_b32 exec_lo, exec_lo, s4
	global_atomic_cmpswap_b32 v2, v[5:6], v[7:8], off glc
	s_waitcnt vmcnt(0)
	v_cmp_eq_u32_e64 s4, v8, v2
	v_mov_b32_e32 v8, v2
	s_delay_alu instid0(VALU_DEP_2) | instskip(NEXT) | instid1(SALU_CYCLE_1)
	s_or_b32 s34, s4, s34
	s_and_not1_b32 exec_lo, exec_lo, s34
	s_cbranch_execz .LBB16_19
.LBB16_22:                              ;   Parent Loop BB16_3 Depth=1
                                        ;     Parent Loop BB16_10 Depth=2
                                        ;       Parent Loop BB16_17 Depth=3
                                        ;         Parent Loop BB16_20 Depth=4
                                        ; =>        This Inner Loop Header: Depth=5
	s_waitcnt vmcnt(0)
	v_lshrrev_b32_e32 v2, 16, v8
	s_delay_alu instid0(VALU_DEP_1) | instskip(NEXT) | instid1(VALU_DEP_1)
	v_cndmask_b32_e64 v2, v2, v8, s2
	v_add_f16_e32 v2, v20, v2
	s_delay_alu instid0(VALU_DEP_1) | instskip(SKIP_1) | instid1(SALU_CYCLE_1)
	v_and_b32_e32 v2, 0xffff, v2
	s_and_saveexec_b32 s4, s3
	s_xor_b32 s4, exec_lo, s4
; %bb.23:                               ;   in Loop: Header=BB16_22 Depth=5
	v_and_b32_e32 v7, 0xffff, v8
	s_delay_alu instid0(VALU_DEP_1)
	v_lshl_or_b32 v7, v2, 16, v7
                                        ; implicit-def: $vgpr2
; %bb.24:                               ;   in Loop: Header=BB16_22 Depth=5
	s_and_not1_saveexec_b32 s4, s4
	s_cbranch_execz .LBB16_21
; %bb.25:                               ;   in Loop: Header=BB16_22 Depth=5
	v_and_or_b32 v7, 0xffff0000, v8, v2
	s_branch .LBB16_21
.LBB16_26:
	s_endpgm
	.section	.rodata,"a",@progbits
	.p2align	6, 0x0
	.amdhsa_kernel _ZN2at6native12_GLOBAL__N_133atomic_adaptive_average_gradinputIN3c104HalfEEEvPT_PKS5_iiii
		.amdhsa_group_segment_fixed_size 0
		.amdhsa_private_segment_fixed_size 0
		.amdhsa_kernarg_size 288
		.amdhsa_user_sgpr_count 14
		.amdhsa_user_sgpr_dispatch_ptr 0
		.amdhsa_user_sgpr_queue_ptr 0
		.amdhsa_user_sgpr_kernarg_segment_ptr 1
		.amdhsa_user_sgpr_dispatch_id 0
		.amdhsa_user_sgpr_private_segment_size 0
		.amdhsa_wavefront_size32 1
		.amdhsa_uses_dynamic_stack 0
		.amdhsa_enable_private_segment 0
		.amdhsa_system_sgpr_workgroup_id_x 1
		.amdhsa_system_sgpr_workgroup_id_y 1
		.amdhsa_system_sgpr_workgroup_id_z 0
		.amdhsa_system_sgpr_workgroup_info 0
		.amdhsa_system_vgpr_workitem_id 1
		.amdhsa_next_free_vgpr 25
		.amdhsa_next_free_sgpr 36
		.amdhsa_reserve_vcc 1
		.amdhsa_float_round_mode_32 0
		.amdhsa_float_round_mode_16_64 0
		.amdhsa_float_denorm_mode_32 3
		.amdhsa_float_denorm_mode_16_64 3
		.amdhsa_dx10_clamp 1
		.amdhsa_ieee_mode 1
		.amdhsa_fp16_overflow 0
		.amdhsa_workgroup_processor_mode 1
		.amdhsa_memory_ordered 1
		.amdhsa_forward_progress 0
		.amdhsa_shared_vgpr_count 0
		.amdhsa_exception_fp_ieee_invalid_op 0
		.amdhsa_exception_fp_denorm_src 0
		.amdhsa_exception_fp_ieee_div_zero 0
		.amdhsa_exception_fp_ieee_overflow 0
		.amdhsa_exception_fp_ieee_underflow 0
		.amdhsa_exception_fp_ieee_inexact 0
		.amdhsa_exception_int_div_zero 0
	.end_amdhsa_kernel
	.section	.text._ZN2at6native12_GLOBAL__N_133atomic_adaptive_average_gradinputIN3c104HalfEEEvPT_PKS5_iiii,"axG",@progbits,_ZN2at6native12_GLOBAL__N_133atomic_adaptive_average_gradinputIN3c104HalfEEEvPT_PKS5_iiii,comdat
.Lfunc_end16:
	.size	_ZN2at6native12_GLOBAL__N_133atomic_adaptive_average_gradinputIN3c104HalfEEEvPT_PKS5_iiii, .Lfunc_end16-_ZN2at6native12_GLOBAL__N_133atomic_adaptive_average_gradinputIN3c104HalfEEEvPT_PKS5_iiii
                                        ; -- End function
	.section	.AMDGPU.csdata,"",@progbits
; Kernel info:
; codeLenInByte = 3556
; NumSgprs: 38
; NumVgprs: 25
; ScratchSize: 0
; MemoryBound: 0
; FloatMode: 240
; IeeeMode: 1
; LDSByteSize: 0 bytes/workgroup (compile time only)
; SGPRBlocks: 4
; VGPRBlocks: 3
; NumSGPRsForWavesPerEU: 38
; NumVGPRsForWavesPerEU: 25
; Occupancy: 16
; WaveLimiterHint : 0
; COMPUTE_PGM_RSRC2:SCRATCH_EN: 0
; COMPUTE_PGM_RSRC2:USER_SGPR: 14
; COMPUTE_PGM_RSRC2:TRAP_HANDLER: 0
; COMPUTE_PGM_RSRC2:TGID_X_EN: 1
; COMPUTE_PGM_RSRC2:TGID_Y_EN: 1
; COMPUTE_PGM_RSRC2:TGID_Z_EN: 0
; COMPUTE_PGM_RSRC2:TIDIG_COMP_CNT: 1
	.section	.text._ZN2at6native12_GLOBAL__N_126adaptive_average_gradinputIN3c104HalfEEEvPT_PKS5_iiii,"axG",@progbits,_ZN2at6native12_GLOBAL__N_126adaptive_average_gradinputIN3c104HalfEEEvPT_PKS5_iiii,comdat
	.globl	_ZN2at6native12_GLOBAL__N_126adaptive_average_gradinputIN3c104HalfEEEvPT_PKS5_iiii ; -- Begin function _ZN2at6native12_GLOBAL__N_126adaptive_average_gradinputIN3c104HalfEEEvPT_PKS5_iiii
	.p2align	8
	.type	_ZN2at6native12_GLOBAL__N_126adaptive_average_gradinputIN3c104HalfEEEvPT_PKS5_iiii,@function
_ZN2at6native12_GLOBAL__N_126adaptive_average_gradinputIN3c104HalfEEEvPT_PKS5_iiii: ; @_ZN2at6native12_GLOBAL__N_126adaptive_average_gradinputIN3c104HalfEEEvPT_PKS5_iiii
; %bb.0:
	s_clause 0x1
	s_load_b32 s10, s[0:1], 0x2c
	s_load_b128 s[4:7], s[0:1], 0x10
	v_bfe_u32 v3, v0, 10, 10
	s_add_u32 s8, s0, 32
	s_addc_u32 s9, s1, 0
	s_mov_b32 s2, exec_lo
	s_waitcnt lgkmcnt(0)
	s_lshr_b32 s11, s10, 16
	s_delay_alu instid0(SALU_CYCLE_1) | instskip(NEXT) | instid1(VALU_DEP_1)
	v_mad_u64_u32 v[1:2], null, s15, s11, v[3:4]
	v_cmpx_gt_i32_e64 s4, v1
	s_cbranch_execz .LBB17_28
; %bb.1:
	s_load_b128 s[0:3], s[0:1], 0x0
	s_mul_i32 s13, s14, s6
	s_load_b32 s23, s[8:9], 0x4
	s_mul_i32 s8, s13, s7
	s_mul_i32 s14, s14, s4
	s_ashr_i32 s9, s8, 31
	s_mul_i32 s18, s14, s5
	s_lshl_b64 s[8:9], s[8:9], 1
	s_mov_b32 s13, s4
	v_and_b32_e32 v13, 0x3ff, v0
	v_cvt_f32_u32_e32 v0, s13
	s_mov_b32 s12, s6
	s_mov_b32 s16, s7
	;; [unrolled: 1-line block ×4, first 2 shown]
	v_rcp_iflag_f32_e32 v0, v0
	s_waitcnt lgkmcnt(0)
	s_add_u32 s14, s2, s8
	s_addc_u32 s15, s3, s9
	s_ashr_i32 s19, s18, 31
	s_mul_i32 s23, s23, s11
	s_lshl_b64 s[2:3], s[18:19], 1
	s_delay_alu instid0(SALU_CYCLE_1)
	s_add_u32 s17, s0, s2
	s_addc_u32 s18, s1, s3
	s_abs_i32 s19, s4
	s_abs_i32 s22, s7
	v_cvt_f32_u32_e32 v2, s19
	v_cvt_f32_u32_e32 v5, s22
	s_abs_i32 s20, s5
	s_abs_i32 s21, s6
	v_cvt_f32_u32_e32 v3, s20
	v_rcp_iflag_f32_e32 v6, v2
	v_mov_b32_e32 v2, 0
	v_rcp_iflag_f32_e32 v5, v5
	v_cvt_f32_u32_e32 v4, s21
	s_sub_i32 s9, 0, s22
	v_rcp_iflag_f32_e32 v3, v3
	v_mul_f32_e32 v0, 0x4f7ffffe, v0
	s_sub_i32 s1, 0, s4
	v_rcp_iflag_f32_e32 v4, v4
	s_sub_i32 s2, 0, s19
	v_mul_f32_e32 v6, 0x4f7ffffe, v6
	s_sub_i32 s3, 0, s20
	v_mul_f32_e32 v5, 0x4f7ffffe, v5
	s_sub_i32 s8, 0, s21
	v_cmp_gt_i32_e64 s0, s5, v13
	s_waitcnt_depctr 0xfff
	v_mul_f32_e32 v3, 0x4f7ffffe, v3
	v_cvt_u32_f32_e32 v0, v0
	v_cvt_u32_f32_e32 v5, v5
	;; [unrolled: 1-line block ×3, first 2 shown]
	s_and_b32 s24, s10, 0xffff
	v_cvt_u32_f32_e32 v3, v3
	v_mul_lo_u32 v11, s1, v0
	v_mul_lo_u32 v10, s9, v5
	;; [unrolled: 1-line block ×3, first 2 shown]
	s_ashr_i32 s25, s6, 31
	v_mul_lo_u32 v8, s3, v3
	s_ashr_i32 s26, s4, 31
	s_ashr_i32 s27, s7, 31
	;; [unrolled: 1-line block ×3, first 2 shown]
	v_mul_hi_u32 v11, v0, v11
	v_mul_hi_u32 v10, v5, v10
	v_mul_f32_e32 v4, 0x4f7ffffe, v4
	v_mul_hi_u32 v7, v6, v7
	v_mul_hi_u32 v8, v3, v8
	s_sub_i32 s31, 0, s7
	v_add_nc_u32_e32 v18, v0, v11
	v_add_nc_u32_e32 v17, v5, v10
	v_cvt_u32_f32_e32 v4, v4
	v_add_nc_u32_e32 v14, v6, v7
	v_add_nc_u32_e32 v15, v3, v8
	s_delay_alu instid0(VALU_DEP_3) | instskip(NEXT) | instid1(VALU_DEP_1)
	v_mul_lo_u32 v9, s8, v4
	v_mul_hi_u32 v9, v4, v9
	s_delay_alu instid0(VALU_DEP_1)
	v_add_nc_u32_e32 v16, v4, v9
	s_branch .LBB17_3
.LBB17_2:                               ;   in Loop: Header=BB17_3 Depth=1
	s_or_b32 exec_lo, exec_lo, s33
	v_add_nc_u32_e32 v1, s23, v1
	s_delay_alu instid0(VALU_DEP_1) | instskip(SKIP_1) | instid1(SALU_CYCLE_1)
	v_cmp_le_i32_e32 vcc_lo, s4, v1
	s_or_b32 s30, vcc_lo, s30
	s_and_not1_b32 exec_lo, exec_lo, s30
	s_cbranch_execz .LBB17_28
.LBB17_3:                               ; =>This Loop Header: Depth=1
                                        ;     Child Loop BB17_10 Depth 2
                                        ;       Child Loop BB17_17 Depth 3
                                        ;         Child Loop BB17_24 Depth 4
	v_add_nc_u32_e32 v0, 1, v1
                                        ; implicit-def: $vgpr6_vgpr7
	s_mov_b32 s1, exec_lo
	s_delay_alu instid0(VALU_DEP_1) | instskip(NEXT) | instid1(VALU_DEP_1)
	v_mad_i64_i32 v[4:5], null, v0, s12, -1
	v_or_b32_e32 v3, s26, v5
	s_delay_alu instid0(VALU_DEP_1)
	v_cmpx_ne_u64_e32 0, v[2:3]
	s_xor_b32 s10, exec_lo, s1
	s_cbranch_execnz .LBB17_6
; %bb.4:                                ;   in Loop: Header=BB17_3 Depth=1
	s_and_not1_saveexec_b32 s1, s10
	s_cbranch_execnz .LBB17_7
.LBB17_5:                               ;   in Loop: Header=BB17_3 Depth=1
	s_or_b32 exec_lo, exec_lo, s1
	s_and_saveexec_b32 s33, s0
	s_cbranch_execz .LBB17_2
	s_branch .LBB17_8
.LBB17_6:                               ;   in Loop: Header=BB17_3 Depth=1
	s_add_u32 s8, s13, s26
	s_mov_b32 s2, s26
	s_mov_b32 s3, s26
	s_addc_u32 s9, s26, s26
	s_delay_alu instid0(SALU_CYCLE_1) | instskip(NEXT) | instid1(SALU_CYCLE_1)
	s_xor_b64 s[8:9], s[8:9], s[2:3]
	v_cvt_f32_u32_e32 v0, s8
	v_cvt_f32_u32_e32 v3, s9
	s_sub_u32 s1, 0, s8
	s_subb_u32 s3, 0, s9
	s_delay_alu instid0(VALU_DEP_1) | instskip(NEXT) | instid1(VALU_DEP_1)
	v_fmac_f32_e32 v0, 0x4f800000, v3
	v_rcp_f32_e32 v0, v0
	s_waitcnt_depctr 0xfff
	v_mul_f32_e32 v0, 0x5f7ffffc, v0
	s_delay_alu instid0(VALU_DEP_1) | instskip(NEXT) | instid1(VALU_DEP_1)
	v_mul_f32_e32 v3, 0x2f800000, v0
	v_trunc_f32_e32 v3, v3
	s_delay_alu instid0(VALU_DEP_1) | instskip(SKIP_1) | instid1(VALU_DEP_2)
	v_fmac_f32_e32 v0, 0xcf800000, v3
	v_cvt_u32_f32_e32 v3, v3
	v_cvt_u32_f32_e32 v0, v0
	s_delay_alu instid0(VALU_DEP_2) | instskip(NEXT) | instid1(VALU_DEP_2)
	v_mul_lo_u32 v6, s1, v3
	v_mul_hi_u32 v7, s1, v0
	v_mul_lo_u32 v8, s3, v0
	s_delay_alu instid0(VALU_DEP_2) | instskip(SKIP_1) | instid1(VALU_DEP_2)
	v_add_nc_u32_e32 v6, v7, v6
	v_mul_lo_u32 v7, s1, v0
	v_add_nc_u32_e32 v6, v6, v8
	s_delay_alu instid0(VALU_DEP_2) | instskip(NEXT) | instid1(VALU_DEP_2)
	v_mul_hi_u32 v8, v0, v7
	v_mul_lo_u32 v9, v0, v6
	v_mul_hi_u32 v10, v0, v6
	v_mul_hi_u32 v11, v3, v7
	v_mul_lo_u32 v7, v3, v7
	v_mul_hi_u32 v12, v3, v6
	v_mul_lo_u32 v6, v3, v6
	v_add_co_u32 v8, vcc_lo, v8, v9
	v_add_co_ci_u32_e32 v9, vcc_lo, 0, v10, vcc_lo
	s_delay_alu instid0(VALU_DEP_2) | instskip(NEXT) | instid1(VALU_DEP_2)
	v_add_co_u32 v7, vcc_lo, v8, v7
	v_add_co_ci_u32_e32 v7, vcc_lo, v9, v11, vcc_lo
	v_add_co_ci_u32_e32 v8, vcc_lo, 0, v12, vcc_lo
	v_ashrrev_i32_e32 v11, 31, v5
	s_delay_alu instid0(VALU_DEP_3) | instskip(NEXT) | instid1(VALU_DEP_3)
	v_add_co_u32 v6, vcc_lo, v7, v6
	v_add_co_ci_u32_e32 v7, vcc_lo, 0, v8, vcc_lo
	s_delay_alu instid0(VALU_DEP_2) | instskip(NEXT) | instid1(VALU_DEP_2)
	v_add_co_u32 v0, vcc_lo, v0, v6
	v_add_co_ci_u32_e32 v3, vcc_lo, v3, v7, vcc_lo
	s_delay_alu instid0(VALU_DEP_2) | instskip(SKIP_1) | instid1(VALU_DEP_3)
	v_mul_hi_u32 v6, s1, v0
	v_mul_lo_u32 v8, s3, v0
	v_mul_lo_u32 v7, s1, v3
	s_delay_alu instid0(VALU_DEP_1) | instskip(SKIP_1) | instid1(VALU_DEP_2)
	v_add_nc_u32_e32 v6, v6, v7
	v_mul_lo_u32 v7, s1, v0
	v_add_nc_u32_e32 v6, v6, v8
	s_delay_alu instid0(VALU_DEP_2) | instskip(NEXT) | instid1(VALU_DEP_2)
	v_mul_hi_u32 v8, v0, v7
	v_mul_lo_u32 v9, v0, v6
	v_mul_hi_u32 v10, v0, v6
	v_mul_hi_u32 v12, v3, v7
	v_mul_lo_u32 v7, v3, v7
	v_mul_hi_u32 v19, v3, v6
	v_mul_lo_u32 v6, v3, v6
	v_add_co_u32 v8, vcc_lo, v8, v9
	v_add_co_ci_u32_e32 v9, vcc_lo, 0, v10, vcc_lo
	s_delay_alu instid0(VALU_DEP_2) | instskip(NEXT) | instid1(VALU_DEP_2)
	v_add_co_u32 v7, vcc_lo, v8, v7
	v_add_co_ci_u32_e32 v7, vcc_lo, v9, v12, vcc_lo
	v_add_co_ci_u32_e32 v8, vcc_lo, 0, v19, vcc_lo
	v_add_co_u32 v4, vcc_lo, v4, v11
	v_add_co_ci_u32_e32 v5, vcc_lo, v5, v11, vcc_lo
	s_delay_alu instid0(VALU_DEP_4) | instskip(NEXT) | instid1(VALU_DEP_4)
	v_add_co_u32 v6, vcc_lo, v7, v6
	v_add_co_ci_u32_e32 v7, vcc_lo, 0, v8, vcc_lo
	s_delay_alu instid0(VALU_DEP_4) | instskip(NEXT) | instid1(VALU_DEP_3)
	v_xor_b32_e32 v9, v4, v11
	v_add_co_u32 v0, vcc_lo, v0, v6
	s_delay_alu instid0(VALU_DEP_3) | instskip(SKIP_1) | instid1(VALU_DEP_3)
	v_add_co_ci_u32_e32 v10, vcc_lo, v3, v7, vcc_lo
	v_xor_b32_e32 v12, v5, v11
	v_mul_hi_u32 v19, v9, v0
	s_delay_alu instid0(VALU_DEP_3) | instskip(NEXT) | instid1(VALU_DEP_3)
	v_mad_u64_u32 v[3:4], null, v9, v10, 0
	v_mad_u64_u32 v[5:6], null, v12, v0, 0
	v_mad_u64_u32 v[7:8], null, v12, v10, 0
	s_delay_alu instid0(VALU_DEP_3) | instskip(NEXT) | instid1(VALU_DEP_4)
	v_add_co_u32 v0, vcc_lo, v19, v3
	v_add_co_ci_u32_e32 v3, vcc_lo, 0, v4, vcc_lo
	s_delay_alu instid0(VALU_DEP_2) | instskip(NEXT) | instid1(VALU_DEP_2)
	v_add_co_u32 v0, vcc_lo, v0, v5
	v_add_co_ci_u32_e32 v0, vcc_lo, v3, v6, vcc_lo
	v_add_co_ci_u32_e32 v3, vcc_lo, 0, v8, vcc_lo
	s_delay_alu instid0(VALU_DEP_2) | instskip(NEXT) | instid1(VALU_DEP_2)
	v_add_co_u32 v0, vcc_lo, v0, v7
	v_add_co_ci_u32_e32 v5, vcc_lo, 0, v3, vcc_lo
	s_delay_alu instid0(VALU_DEP_2) | instskip(SKIP_1) | instid1(VALU_DEP_3)
	v_mul_lo_u32 v6, s9, v0
	v_mad_u64_u32 v[3:4], null, s8, v0, 0
	v_mul_lo_u32 v5, s8, v5
	s_delay_alu instid0(VALU_DEP_2) | instskip(NEXT) | instid1(VALU_DEP_2)
	v_sub_co_u32 v3, vcc_lo, v9, v3
	v_add3_u32 v4, v4, v5, v6
	v_add_co_u32 v6, s1, v0, 2
	s_delay_alu instid0(VALU_DEP_2) | instskip(NEXT) | instid1(VALU_DEP_1)
	v_sub_nc_u32_e32 v5, v12, v4
	v_subrev_co_ci_u32_e64 v5, s1, s9, v5, vcc_lo
	v_sub_co_u32 v7, s1, v3, s8
	v_sub_co_ci_u32_e32 v4, vcc_lo, v12, v4, vcc_lo
	s_delay_alu instid0(VALU_DEP_3) | instskip(NEXT) | instid1(VALU_DEP_3)
	v_subrev_co_ci_u32_e64 v5, s1, 0, v5, s1
	v_cmp_le_u32_e32 vcc_lo, s8, v7
	v_cndmask_b32_e64 v7, 0, -1, vcc_lo
	s_delay_alu instid0(VALU_DEP_3)
	v_cmp_le_u32_e32 vcc_lo, s9, v5
	v_cndmask_b32_e64 v8, 0, -1, vcc_lo
	v_cmp_le_u32_e32 vcc_lo, s8, v3
	v_cndmask_b32_e64 v3, 0, -1, vcc_lo
	;; [unrolled: 2-line block ×3, first 2 shown]
	v_cmp_eq_u32_e32 vcc_lo, s9, v5
	v_cndmask_b32_e32 v5, v8, v7, vcc_lo
	v_add_co_u32 v7, vcc_lo, v0, 1
	v_cmp_eq_u32_e32 vcc_lo, s9, v4
	v_cndmask_b32_e32 v3, v9, v3, vcc_lo
	s_delay_alu instid0(VALU_DEP_4) | instskip(NEXT) | instid1(VALU_DEP_4)
	v_cmp_ne_u32_e32 vcc_lo, 0, v5
	v_cndmask_b32_e32 v4, v7, v6, vcc_lo
	s_delay_alu instid0(VALU_DEP_3) | instskip(SKIP_1) | instid1(VALU_DEP_3)
	v_cmp_ne_u32_e32 vcc_lo, 0, v3
	v_xor_b32_e32 v3, s2, v11
	v_cndmask_b32_e32 v0, v0, v4, vcc_lo
                                        ; implicit-def: $vgpr4_vgpr5
	s_delay_alu instid0(VALU_DEP_1) | instskip(NEXT) | instid1(VALU_DEP_1)
	v_xor_b32_e32 v0, v0, v3
	v_sub_co_u32 v6, vcc_lo, v0, v3
	s_and_not1_saveexec_b32 s1, s10
	s_cbranch_execz .LBB17_5
.LBB17_7:                               ;   in Loop: Header=BB17_3 Depth=1
	s_delay_alu instid0(VALU_DEP_3) | instskip(NEXT) | instid1(VALU_DEP_1)
	v_mul_hi_u32 v0, v4, v18
	v_mul_lo_u32 v3, v0, s13
	s_delay_alu instid0(VALU_DEP_1) | instskip(NEXT) | instid1(VALU_DEP_1)
	v_sub_nc_u32_e32 v3, v4, v3
	v_subrev_nc_u32_e32 v5, s13, v3
	v_cmp_le_u32_e32 vcc_lo, s13, v3
	s_delay_alu instid0(VALU_DEP_2) | instskip(NEXT) | instid1(VALU_DEP_1)
	v_dual_cndmask_b32 v3, v3, v5 :: v_dual_add_nc_u32 v4, 1, v0
	v_cndmask_b32_e32 v0, v0, v4, vcc_lo
	s_delay_alu instid0(VALU_DEP_2) | instskip(NEXT) | instid1(VALU_DEP_2)
	v_cmp_le_u32_e32 vcc_lo, s13, v3
	v_add_nc_u32_e32 v4, 1, v0
	s_delay_alu instid0(VALU_DEP_1)
	v_cndmask_b32_e32 v6, v0, v4, vcc_lo
	s_or_b32 exec_lo, exec_lo, s1
	s_and_saveexec_b32 s33, s0
	s_cbranch_execz .LBB17_2
.LBB17_8:                               ;   in Loop: Header=BB17_3 Depth=1
	v_sub_nc_u32_e32 v0, 0, v1
	s_mov_b32 s34, 0
	v_add_nc_u32_e32 v19, 1, v6
	s_delay_alu instid0(VALU_DEP_2) | instskip(NEXT) | instid1(VALU_DEP_1)
	v_max_i32_e32 v0, v1, v0
	v_mul_hi_u32 v3, v0, v14
	s_delay_alu instid0(VALU_DEP_1) | instskip(NEXT) | instid1(VALU_DEP_1)
	v_mul_lo_u32 v4, v3, s19
	v_sub_nc_u32_e32 v0, v0, v4
	v_add_nc_u32_e32 v4, 1, v3
	s_delay_alu instid0(VALU_DEP_2) | instskip(SKIP_1) | instid1(VALU_DEP_2)
	v_subrev_nc_u32_e32 v5, s19, v0
	v_cmp_le_u32_e32 vcc_lo, s19, v0
	v_dual_cndmask_b32 v3, v3, v4 :: v_dual_cndmask_b32 v0, v0, v5
	v_ashrrev_i32_e32 v4, 31, v1
	s_delay_alu instid0(VALU_DEP_2) | instskip(NEXT) | instid1(VALU_DEP_3)
	v_add_nc_u32_e32 v5, 1, v3
	v_cmp_le_u32_e32 vcc_lo, s19, v0
	s_delay_alu instid0(VALU_DEP_3) | instskip(NEXT) | instid1(VALU_DEP_3)
	v_xor_b32_e32 v4, s26, v4
	v_cndmask_b32_e32 v0, v3, v5, vcc_lo
	s_delay_alu instid0(VALU_DEP_1) | instskip(NEXT) | instid1(VALU_DEP_1)
	v_xor_b32_e32 v0, v0, v4
	v_sub_nc_u32_e32 v3, v0, v4
	s_delay_alu instid0(VALU_DEP_1) | instskip(NEXT) | instid1(VALU_DEP_1)
	v_mul_lo_u32 v0, v3, s4
	v_sub_nc_u32_e32 v0, v1, v0
	s_delay_alu instid0(VALU_DEP_1) | instskip(NEXT) | instid1(VALU_DEP_1)
	v_mul_lo_u32 v0, v0, s6
	v_sub_nc_u32_e32 v4, 0, v0
	s_delay_alu instid0(VALU_DEP_1) | instskip(SKIP_1) | instid1(VALU_DEP_2)
	v_max_i32_e32 v4, v0, v4
	v_ashrrev_i32_e32 v0, 31, v0
	v_mul_hi_u32 v5, v4, v14
	s_delay_alu instid0(VALU_DEP_2) | instskip(NEXT) | instid1(VALU_DEP_2)
	v_xor_b32_e32 v0, s26, v0
	v_mul_lo_u32 v7, v5, s19
	s_delay_alu instid0(VALU_DEP_1) | instskip(SKIP_1) | instid1(VALU_DEP_2)
	v_sub_nc_u32_e32 v4, v4, v7
	v_add_nc_u32_e32 v7, 1, v5
	v_subrev_nc_u32_e32 v8, s19, v4
	v_cmp_le_u32_e32 vcc_lo, s19, v4
	s_delay_alu instid0(VALU_DEP_2) | instskip(NEXT) | instid1(VALU_DEP_1)
	v_dual_cndmask_b32 v5, v5, v7 :: v_dual_cndmask_b32 v4, v4, v8
	v_add_nc_u32_e32 v7, 1, v5
	s_delay_alu instid0(VALU_DEP_2) | instskip(NEXT) | instid1(VALU_DEP_2)
	v_cmp_le_u32_e32 vcc_lo, s19, v4
	v_cndmask_b32_e32 v4, v5, v7, vcc_lo
	v_mul_lo_u32 v7, v1, s5
	s_delay_alu instid0(VALU_DEP_2) | instskip(NEXT) | instid1(VALU_DEP_2)
	v_xor_b32_e32 v4, v4, v0
	v_ashrrev_i32_e32 v8, 31, v7
	s_delay_alu instid0(VALU_DEP_2) | instskip(NEXT) | instid1(VALU_DEP_2)
	v_sub_nc_u32_e32 v0, v4, v0
	v_lshlrev_b64 v[7:8], 1, v[7:8]
	s_delay_alu instid0(VALU_DEP_2) | instskip(SKIP_1) | instid1(VALU_DEP_3)
	v_mad_u64_u32 v[4:5], null, v3, s6, v[0:1]
	v_mov_b32_e32 v5, v13
	v_add_co_u32 v21, vcc_lo, s17, v7
	s_delay_alu instid0(VALU_DEP_4) | instskip(NEXT) | instid1(VALU_DEP_4)
	v_add_co_ci_u32_e32 v22, vcc_lo, s18, v8, vcc_lo
	v_mul_lo_u32 v20, s7, v4
	v_cmp_lt_i32_e64 s1, v4, v19
	s_branch .LBB17_10
.LBB17_9:                               ;   in Loop: Header=BB17_10 Depth=2
	s_or_b32 exec_lo, exec_lo, s35
	v_add_nc_u32_e32 v5, s24, v5
	s_delay_alu instid0(VALU_DEP_1) | instskip(SKIP_1) | instid1(SALU_CYCLE_1)
	v_cmp_le_i32_e32 vcc_lo, s5, v5
	s_or_b32 s34, vcc_lo, s34
	s_and_not1_b32 exec_lo, exec_lo, s34
	s_cbranch_execz .LBB17_2
.LBB17_10:                              ;   Parent Loop BB17_3 Depth=1
                                        ; =>  This Loop Header: Depth=2
                                        ;       Child Loop BB17_17 Depth 3
                                        ;         Child Loop BB17_24 Depth 4
	v_add_nc_u32_e32 v3, 1, v5
	s_mov_b32 s2, exec_lo
	s_delay_alu instid0(VALU_DEP_1) | instskip(NEXT) | instid1(VALU_DEP_1)
	v_mad_u64_u32 v[6:7], null, v3, s16, -1
	v_mov_b32_e32 v0, v7
	s_delay_alu instid0(VALU_DEP_1) | instskip(NEXT) | instid1(VALU_DEP_1)
	v_mad_u64_u32 v[7:8], null, v3, s27, v[0:1]
                                        ; implicit-def: $vgpr8_vgpr9
	v_mov_b32_e32 v0, v7
	s_delay_alu instid0(VALU_DEP_1) | instskip(NEXT) | instid1(VALU_DEP_1)
	v_or_b32_e32 v3, s28, v0
	v_cmpx_ne_u64_e32 0, v[2:3]
	s_xor_b32 s3, exec_lo, s2
	s_cbranch_execnz .LBB17_13
; %bb.11:                               ;   in Loop: Header=BB17_10 Depth=2
	s_and_not1_saveexec_b32 s2, s3
	s_cbranch_execnz .LBB17_14
.LBB17_12:                              ;   in Loop: Header=BB17_10 Depth=2
	s_or_b32 exec_lo, exec_lo, s2
	v_mov_b32_e32 v6, v2
	s_and_saveexec_b32 s35, s1
	s_cbranch_execz .LBB17_9
	s_branch .LBB17_15
.LBB17_13:                              ;   in Loop: Header=BB17_10 Depth=2
	s_add_u32 s10, s29, s28
	s_mov_b32 s8, s28
	s_mov_b32 s9, s28
	s_addc_u32 s11, s28, s28
	s_delay_alu instid0(SALU_CYCLE_1) | instskip(NEXT) | instid1(SALU_CYCLE_1)
	s_xor_b64 s[10:11], s[10:11], s[8:9]
	v_cvt_f32_u32_e32 v3, s10
	v_cvt_f32_u32_e32 v7, s11
	s_sub_u32 s2, 0, s10
	s_subb_u32 s9, 0, s11
	s_delay_alu instid0(VALU_DEP_1) | instskip(NEXT) | instid1(VALU_DEP_1)
	v_fmac_f32_e32 v3, 0x4f800000, v7
	v_rcp_f32_e32 v3, v3
	s_waitcnt_depctr 0xfff
	v_mul_f32_e32 v3, 0x5f7ffffc, v3
	s_delay_alu instid0(VALU_DEP_1) | instskip(NEXT) | instid1(VALU_DEP_1)
	v_mul_f32_e32 v7, 0x2f800000, v3
	v_trunc_f32_e32 v7, v7
	s_delay_alu instid0(VALU_DEP_1) | instskip(SKIP_1) | instid1(VALU_DEP_2)
	v_fmac_f32_e32 v3, 0xcf800000, v7
	v_cvt_u32_f32_e32 v7, v7
	v_cvt_u32_f32_e32 v3, v3
	s_delay_alu instid0(VALU_DEP_2) | instskip(NEXT) | instid1(VALU_DEP_2)
	v_mul_lo_u32 v8, s2, v7
	v_mul_hi_u32 v9, s2, v3
	v_mul_lo_u32 v10, s9, v3
	s_delay_alu instid0(VALU_DEP_2) | instskip(SKIP_1) | instid1(VALU_DEP_2)
	v_add_nc_u32_e32 v8, v9, v8
	v_mul_lo_u32 v9, s2, v3
	v_add_nc_u32_e32 v8, v8, v10
	s_delay_alu instid0(VALU_DEP_2) | instskip(NEXT) | instid1(VALU_DEP_2)
	v_mul_hi_u32 v10, v3, v9
	v_mul_lo_u32 v11, v3, v8
	v_mul_hi_u32 v12, v3, v8
	v_mul_hi_u32 v23, v7, v9
	v_mul_lo_u32 v9, v7, v9
	v_mul_hi_u32 v24, v7, v8
	v_mul_lo_u32 v8, v7, v8
	v_add_co_u32 v10, vcc_lo, v10, v11
	v_add_co_ci_u32_e32 v11, vcc_lo, 0, v12, vcc_lo
	s_delay_alu instid0(VALU_DEP_2) | instskip(NEXT) | instid1(VALU_DEP_2)
	v_add_co_u32 v9, vcc_lo, v10, v9
	v_add_co_ci_u32_e32 v9, vcc_lo, v11, v23, vcc_lo
	v_add_co_ci_u32_e32 v10, vcc_lo, 0, v24, vcc_lo
	v_ashrrev_i32_e32 v23, 31, v0
	s_delay_alu instid0(VALU_DEP_3) | instskip(NEXT) | instid1(VALU_DEP_3)
	v_add_co_u32 v8, vcc_lo, v9, v8
	v_add_co_ci_u32_e32 v9, vcc_lo, 0, v10, vcc_lo
	s_delay_alu instid0(VALU_DEP_2) | instskip(NEXT) | instid1(VALU_DEP_2)
	v_add_co_u32 v3, vcc_lo, v3, v8
	v_add_co_ci_u32_e32 v7, vcc_lo, v7, v9, vcc_lo
	s_delay_alu instid0(VALU_DEP_2) | instskip(SKIP_1) | instid1(VALU_DEP_3)
	v_mul_hi_u32 v8, s2, v3
	v_mul_lo_u32 v10, s9, v3
	v_mul_lo_u32 v9, s2, v7
	s_delay_alu instid0(VALU_DEP_1) | instskip(SKIP_1) | instid1(VALU_DEP_2)
	v_add_nc_u32_e32 v8, v8, v9
	v_mul_lo_u32 v9, s2, v3
	v_add_nc_u32_e32 v8, v8, v10
	s_delay_alu instid0(VALU_DEP_2) | instskip(NEXT) | instid1(VALU_DEP_2)
	v_mul_hi_u32 v10, v3, v9
	v_mul_lo_u32 v11, v3, v8
	v_mul_hi_u32 v12, v3, v8
	v_mul_hi_u32 v24, v7, v9
	v_mul_lo_u32 v9, v7, v9
	v_mul_hi_u32 v25, v7, v8
	v_mul_lo_u32 v8, v7, v8
	v_add_co_u32 v10, vcc_lo, v10, v11
	v_add_co_ci_u32_e32 v11, vcc_lo, 0, v12, vcc_lo
	s_delay_alu instid0(VALU_DEP_2) | instskip(NEXT) | instid1(VALU_DEP_2)
	v_add_co_u32 v9, vcc_lo, v10, v9
	v_add_co_ci_u32_e32 v9, vcc_lo, v11, v24, vcc_lo
	v_add_co_ci_u32_e32 v10, vcc_lo, 0, v25, vcc_lo
	v_add_co_u32 v6, vcc_lo, v6, v23
	v_add_co_ci_u32_e32 v0, vcc_lo, v0, v23, vcc_lo
	s_delay_alu instid0(VALU_DEP_4) | instskip(NEXT) | instid1(VALU_DEP_4)
	v_add_co_u32 v8, vcc_lo, v9, v8
	v_add_co_ci_u32_e32 v9, vcc_lo, 0, v10, vcc_lo
	s_delay_alu instid0(VALU_DEP_4) | instskip(NEXT) | instid1(VALU_DEP_3)
	v_xor_b32_e32 v12, v6, v23
	v_add_co_u32 v3, vcc_lo, v3, v8
	s_delay_alu instid0(VALU_DEP_3) | instskip(SKIP_1) | instid1(VALU_DEP_3)
	v_add_co_ci_u32_e32 v24, vcc_lo, v7, v9, vcc_lo
	v_xor_b32_e32 v0, v0, v23
	v_mul_hi_u32 v25, v12, v3
	s_delay_alu instid0(VALU_DEP_3) | instskip(NEXT) | instid1(VALU_DEP_3)
	v_mad_u64_u32 v[6:7], null, v12, v24, 0
	v_mad_u64_u32 v[8:9], null, v0, v3, 0
	;; [unrolled: 1-line block ×3, first 2 shown]
	s_delay_alu instid0(VALU_DEP_3) | instskip(NEXT) | instid1(VALU_DEP_4)
	v_add_co_u32 v3, vcc_lo, v25, v6
	v_add_co_ci_u32_e32 v6, vcc_lo, 0, v7, vcc_lo
	s_delay_alu instid0(VALU_DEP_2) | instskip(NEXT) | instid1(VALU_DEP_2)
	v_add_co_u32 v3, vcc_lo, v3, v8
	v_add_co_ci_u32_e32 v3, vcc_lo, v6, v9, vcc_lo
	v_add_co_ci_u32_e32 v6, vcc_lo, 0, v11, vcc_lo
	s_delay_alu instid0(VALU_DEP_2) | instskip(NEXT) | instid1(VALU_DEP_2)
	v_add_co_u32 v3, vcc_lo, v3, v10
	v_add_co_ci_u32_e32 v8, vcc_lo, 0, v6, vcc_lo
	s_delay_alu instid0(VALU_DEP_2) | instskip(SKIP_1) | instid1(VALU_DEP_3)
	v_mul_lo_u32 v9, s11, v3
	v_mad_u64_u32 v[6:7], null, s10, v3, 0
	v_mul_lo_u32 v8, s10, v8
	s_delay_alu instid0(VALU_DEP_2) | instskip(NEXT) | instid1(VALU_DEP_2)
	v_sub_co_u32 v6, vcc_lo, v12, v6
	v_add3_u32 v7, v7, v8, v9
	v_add_co_u32 v9, s2, v3, 2
	s_delay_alu instid0(VALU_DEP_2) | instskip(NEXT) | instid1(VALU_DEP_1)
	v_sub_nc_u32_e32 v8, v0, v7
	v_subrev_co_ci_u32_e64 v8, s2, s11, v8, vcc_lo
	v_sub_co_u32 v10, s2, v6, s10
	v_sub_co_ci_u32_e32 v0, vcc_lo, v0, v7, vcc_lo
	s_delay_alu instid0(VALU_DEP_3) | instskip(NEXT) | instid1(VALU_DEP_3)
	v_subrev_co_ci_u32_e64 v8, s2, 0, v8, s2
	v_cmp_le_u32_e32 vcc_lo, s10, v10
	v_cndmask_b32_e64 v7, 0, -1, vcc_lo
	s_delay_alu instid0(VALU_DEP_3)
	v_cmp_le_u32_e32 vcc_lo, s11, v8
	v_cndmask_b32_e64 v10, 0, -1, vcc_lo
	v_cmp_le_u32_e32 vcc_lo, s10, v6
	v_cndmask_b32_e64 v6, 0, -1, vcc_lo
	;; [unrolled: 2-line block ×3, first 2 shown]
	v_cmp_eq_u32_e32 vcc_lo, s11, v8
	v_cndmask_b32_e32 v7, v10, v7, vcc_lo
	v_add_co_u32 v8, vcc_lo, v3, 1
	v_cmp_eq_u32_e32 vcc_lo, s11, v0
	v_cndmask_b32_e32 v0, v11, v6, vcc_lo
	s_delay_alu instid0(VALU_DEP_4) | instskip(NEXT) | instid1(VALU_DEP_4)
	v_cmp_ne_u32_e32 vcc_lo, 0, v7
	v_cndmask_b32_e32 v6, v8, v9, vcc_lo
	s_delay_alu instid0(VALU_DEP_3) | instskip(NEXT) | instid1(VALU_DEP_2)
	v_cmp_ne_u32_e32 vcc_lo, 0, v0
	v_cndmask_b32_e32 v0, v3, v6, vcc_lo
	v_xor_b32_e32 v3, s8, v23
                                        ; implicit-def: $vgpr6_vgpr7
	s_delay_alu instid0(VALU_DEP_1) | instskip(NEXT) | instid1(VALU_DEP_1)
	v_xor_b32_e32 v0, v0, v3
	v_sub_co_u32 v8, vcc_lo, v0, v3
	s_and_not1_saveexec_b32 s2, s3
	s_cbranch_execz .LBB17_12
.LBB17_14:                              ;   in Loop: Header=BB17_10 Depth=2
	v_cvt_f32_u32_e32 v0, s29
	s_sub_i32 s3, 0, s29
	s_delay_alu instid0(VALU_DEP_1) | instskip(SKIP_2) | instid1(VALU_DEP_1)
	v_rcp_iflag_f32_e32 v0, v0
	s_waitcnt_depctr 0xfff
	v_mul_f32_e32 v0, 0x4f7ffffe, v0
	v_cvt_u32_f32_e32 v0, v0
	s_delay_alu instid0(VALU_DEP_1) | instskip(NEXT) | instid1(VALU_DEP_1)
	v_mul_lo_u32 v3, s3, v0
	v_mul_hi_u32 v3, v0, v3
	s_delay_alu instid0(VALU_DEP_1) | instskip(NEXT) | instid1(VALU_DEP_1)
	v_add_nc_u32_e32 v0, v0, v3
	v_mul_hi_u32 v0, v6, v0
	s_delay_alu instid0(VALU_DEP_1) | instskip(NEXT) | instid1(VALU_DEP_1)
	v_mul_lo_u32 v3, v0, s29
	v_sub_nc_u32_e32 v3, v6, v3
	v_add_nc_u32_e32 v6, 1, v0
	s_delay_alu instid0(VALU_DEP_2) | instskip(SKIP_1) | instid1(VALU_DEP_2)
	v_subrev_nc_u32_e32 v7, s29, v3
	v_cmp_le_u32_e32 vcc_lo, s29, v3
	v_dual_cndmask_b32 v3, v3, v7 :: v_dual_cndmask_b32 v0, v0, v6
	s_delay_alu instid0(VALU_DEP_1) | instskip(NEXT) | instid1(VALU_DEP_2)
	v_cmp_le_u32_e32 vcc_lo, s29, v3
	v_add_nc_u32_e32 v6, 1, v0
	s_delay_alu instid0(VALU_DEP_1)
	v_cndmask_b32_e32 v8, v0, v6, vcc_lo
	s_or_b32 exec_lo, exec_lo, s2
	v_mov_b32_e32 v6, v2
	s_and_saveexec_b32 s35, s1
	s_cbranch_execz .LBB17_9
.LBB17_15:                              ;   in Loop: Header=BB17_10 Depth=2
	v_mul_lo_u32 v0, v5, s7
	v_mul_hi_u32 v7, v5, v15
	s_mov_b32 s36, 0
	v_mov_b32_e32 v24, v20
	s_delay_alu instid0(VALU_DEP_3) | instskip(NEXT) | instid1(VALU_DEP_3)
	v_sub_nc_u32_e32 v3, 0, v0
	v_mul_lo_u32 v10, v7, s20
	v_add_nc_u32_e32 v12, 1, v7
	s_delay_alu instid0(VALU_DEP_3) | instskip(SKIP_1) | instid1(VALU_DEP_4)
	v_max_i32_e32 v3, v0, v3
	v_ashrrev_i32_e32 v0, 31, v0
	v_sub_nc_u32_e32 v10, v5, v10
	s_delay_alu instid0(VALU_DEP_3) | instskip(NEXT) | instid1(VALU_DEP_3)
	v_mul_hi_u32 v9, v3, v15
	v_xor_b32_e32 v0, s28, v0
	s_delay_alu instid0(VALU_DEP_3) | instskip(NEXT) | instid1(VALU_DEP_3)
	v_cmp_le_u32_e32 vcc_lo, s20, v10
	v_mul_lo_u32 v11, v9, s20
	v_cndmask_b32_e32 v7, v7, v12, vcc_lo
	v_subrev_nc_u32_e32 v12, s20, v10
	s_delay_alu instid0(VALU_DEP_1) | instskip(NEXT) | instid1(VALU_DEP_4)
	v_cndmask_b32_e32 v10, v10, v12, vcc_lo
	v_sub_nc_u32_e32 v3, v3, v11
	v_add_nc_u32_e32 v11, 1, v9
	s_delay_alu instid0(VALU_DEP_3) | instskip(NEXT) | instid1(VALU_DEP_3)
	v_cmp_le_u32_e32 vcc_lo, s20, v10
	v_cmp_le_u32_e64 s2, s20, v3
	v_subrev_nc_u32_e32 v23, s20, v3
	s_delay_alu instid0(VALU_DEP_2) | instskip(NEXT) | instid1(VALU_DEP_2)
	v_cndmask_b32_e64 v9, v9, v11, s2
	v_cndmask_b32_e64 v3, v3, v23, s2
	v_add_nc_u32_e32 v23, 1, v8
	s_delay_alu instid0(VALU_DEP_3) | instskip(SKIP_1) | instid1(VALU_DEP_1)
	v_add_nc_u32_e32 v12, 1, v9
	v_add_nc_u32_e32 v11, 1, v7
	v_cndmask_b32_e32 v7, v7, v11, vcc_lo
	v_cmp_le_u32_e32 vcc_lo, s20, v3
	s_delay_alu instid0(VALU_DEP_2) | instskip(SKIP_2) | instid1(VALU_DEP_3)
	v_xor_b32_e32 v7, s28, v7
	v_cndmask_b32_e32 v3, v9, v12, vcc_lo
	v_lshlrev_b64 v[9:10], 1, v[5:6]
	v_subrev_nc_u32_e32 v11, s28, v7
	s_delay_alu instid0(VALU_DEP_3) | instskip(NEXT) | instid1(VALU_DEP_1)
	v_xor_b32_e32 v3, v3, v0
	v_sub_nc_u32_e32 v0, v3, v0
	s_delay_alu instid0(VALU_DEP_1) | instskip(SKIP_3) | instid1(VALU_DEP_4)
	v_mad_u64_u32 v[6:7], null, v11, s7, v[0:1]
	v_mov_b32_e32 v0, v4
	v_add_co_u32 v7, vcc_lo, v21, v9
	v_add_co_ci_u32_e32 v8, vcc_lo, v22, v10, vcc_lo
	v_cmp_lt_i32_e64 s2, v6, v23
	s_branch .LBB17_17
.LBB17_16:                              ;   in Loop: Header=BB17_17 Depth=3
	s_or_b32 exec_lo, exec_lo, s37
	s_delay_alu instid0(VALU_DEP_1) | instskip(SKIP_3) | instid1(SALU_CYCLE_1)
	v_cmp_ge_i32_e32 vcc_lo, v25, v19
	v_add_nc_u32_e32 v24, s7, v24
	v_mov_b32_e32 v0, v25
	s_or_b32 s36, vcc_lo, s36
	s_and_not1_b32 exec_lo, exec_lo, s36
	s_cbranch_execz .LBB17_9
.LBB17_17:                              ;   Parent Loop BB17_3 Depth=1
                                        ;     Parent Loop BB17_10 Depth=2
                                        ; =>    This Loop Header: Depth=3
                                        ;         Child Loop BB17_24 Depth 4
	s_delay_alu instid0(VALU_DEP_1) | instskip(NEXT) | instid1(VALU_DEP_2)
	v_add_nc_u32_e32 v25, 1, v0
	s_and_saveexec_b32 s37, s2
	s_cbranch_execz .LBB17_16
; %bb.18:                               ;   in Loop: Header=BB17_17 Depth=3
	s_delay_alu instid0(VALU_DEP_1) | instskip(SKIP_1) | instid1(VALU_DEP_1)
	v_mad_i64_i32 v[9:10], null, v25, s13, -1
                                        ; implicit-def: $vgpr11_vgpr12
	s_mov_b32 s3, exec_lo
	v_or_b32_e32 v3, s25, v10
	s_delay_alu instid0(VALU_DEP_1)
	v_cmpx_ne_u64_e32 0, v[2:3]
	s_xor_b32 s38, exec_lo, s3
	s_cbranch_execz .LBB17_20
; %bb.19:                               ;   in Loop: Header=BB17_17 Depth=3
	s_add_u32 s10, s12, s25
	s_mov_b32 s8, s25
	s_mov_b32 s9, s25
	s_addc_u32 s11, s25, s25
	s_delay_alu instid0(SALU_CYCLE_1) | instskip(NEXT) | instid1(SALU_CYCLE_1)
	s_xor_b64 s[10:11], s[10:11], s[8:9]
	v_cvt_f32_u32_e32 v3, s10
	v_cvt_f32_u32_e32 v11, s11
	s_sub_u32 s3, 0, s10
	s_subb_u32 s9, 0, s11
	s_delay_alu instid0(VALU_DEP_1) | instskip(NEXT) | instid1(VALU_DEP_1)
	v_fmac_f32_e32 v3, 0x4f800000, v11
	v_rcp_f32_e32 v3, v3
	s_waitcnt_depctr 0xfff
	v_mul_f32_e32 v3, 0x5f7ffffc, v3
	s_delay_alu instid0(VALU_DEP_1) | instskip(NEXT) | instid1(VALU_DEP_1)
	v_mul_f32_e32 v11, 0x2f800000, v3
	v_trunc_f32_e32 v11, v11
	s_delay_alu instid0(VALU_DEP_1) | instskip(SKIP_1) | instid1(VALU_DEP_2)
	v_fmac_f32_e32 v3, 0xcf800000, v11
	v_cvt_u32_f32_e32 v11, v11
	v_cvt_u32_f32_e32 v3, v3
	s_delay_alu instid0(VALU_DEP_2) | instskip(NEXT) | instid1(VALU_DEP_2)
	v_mul_lo_u32 v12, s3, v11
	v_mul_hi_u32 v26, s3, v3
	v_mul_lo_u32 v27, s9, v3
	s_delay_alu instid0(VALU_DEP_2) | instskip(SKIP_1) | instid1(VALU_DEP_2)
	v_add_nc_u32_e32 v12, v26, v12
	v_mul_lo_u32 v26, s3, v3
	v_add_nc_u32_e32 v12, v12, v27
	s_delay_alu instid0(VALU_DEP_2) | instskip(NEXT) | instid1(VALU_DEP_2)
	v_mul_hi_u32 v27, v3, v26
	v_mul_lo_u32 v28, v3, v12
	v_mul_hi_u32 v29, v3, v12
	v_mul_hi_u32 v30, v11, v26
	v_mul_lo_u32 v26, v11, v26
	v_mul_hi_u32 v31, v11, v12
	v_mul_lo_u32 v12, v11, v12
	v_add_co_u32 v27, vcc_lo, v27, v28
	v_add_co_ci_u32_e32 v28, vcc_lo, 0, v29, vcc_lo
	s_delay_alu instid0(VALU_DEP_2) | instskip(NEXT) | instid1(VALU_DEP_2)
	v_add_co_u32 v26, vcc_lo, v27, v26
	v_add_co_ci_u32_e32 v26, vcc_lo, v28, v30, vcc_lo
	v_add_co_ci_u32_e32 v27, vcc_lo, 0, v31, vcc_lo
	v_ashrrev_i32_e32 v30, 31, v10
	s_delay_alu instid0(VALU_DEP_3) | instskip(NEXT) | instid1(VALU_DEP_3)
	v_add_co_u32 v12, vcc_lo, v26, v12
	v_add_co_ci_u32_e32 v26, vcc_lo, 0, v27, vcc_lo
	s_delay_alu instid0(VALU_DEP_2) | instskip(NEXT) | instid1(VALU_DEP_2)
	v_add_co_u32 v3, vcc_lo, v3, v12
	v_add_co_ci_u32_e32 v11, vcc_lo, v11, v26, vcc_lo
	s_delay_alu instid0(VALU_DEP_2) | instskip(SKIP_1) | instid1(VALU_DEP_3)
	v_mul_hi_u32 v12, s3, v3
	v_mul_lo_u32 v27, s9, v3
	v_mul_lo_u32 v26, s3, v11
	s_delay_alu instid0(VALU_DEP_1) | instskip(SKIP_1) | instid1(VALU_DEP_2)
	v_add_nc_u32_e32 v12, v12, v26
	v_mul_lo_u32 v26, s3, v3
	v_add_nc_u32_e32 v12, v12, v27
	s_delay_alu instid0(VALU_DEP_2) | instskip(NEXT) | instid1(VALU_DEP_2)
	v_mul_hi_u32 v27, v3, v26
	v_mul_lo_u32 v28, v3, v12
	v_mul_hi_u32 v29, v3, v12
	v_mul_hi_u32 v31, v11, v26
	v_mul_lo_u32 v26, v11, v26
	v_mul_hi_u32 v32, v11, v12
	v_mul_lo_u32 v12, v11, v12
	v_add_co_u32 v27, vcc_lo, v27, v28
	v_add_co_ci_u32_e32 v28, vcc_lo, 0, v29, vcc_lo
	s_delay_alu instid0(VALU_DEP_2) | instskip(NEXT) | instid1(VALU_DEP_2)
	v_add_co_u32 v26, vcc_lo, v27, v26
	v_add_co_ci_u32_e32 v26, vcc_lo, v28, v31, vcc_lo
	v_add_co_ci_u32_e32 v27, vcc_lo, 0, v32, vcc_lo
	v_add_co_u32 v9, vcc_lo, v9, v30
	v_add_co_ci_u32_e32 v10, vcc_lo, v10, v30, vcc_lo
	s_delay_alu instid0(VALU_DEP_4) | instskip(NEXT) | instid1(VALU_DEP_4)
	v_add_co_u32 v12, vcc_lo, v26, v12
	v_add_co_ci_u32_e32 v26, vcc_lo, 0, v27, vcc_lo
	s_delay_alu instid0(VALU_DEP_4) | instskip(NEXT) | instid1(VALU_DEP_3)
	v_xor_b32_e32 v28, v9, v30
	v_add_co_u32 v3, vcc_lo, v3, v12
	s_delay_alu instid0(VALU_DEP_3) | instskip(SKIP_1) | instid1(VALU_DEP_3)
	v_add_co_ci_u32_e32 v29, vcc_lo, v11, v26, vcc_lo
	v_xor_b32_e32 v31, v10, v30
	v_mul_hi_u32 v32, v28, v3
	s_delay_alu instid0(VALU_DEP_3) | instskip(NEXT) | instid1(VALU_DEP_3)
	v_mad_u64_u32 v[9:10], null, v28, v29, 0
	v_mad_u64_u32 v[11:12], null, v31, v3, 0
	;; [unrolled: 1-line block ×3, first 2 shown]
	s_delay_alu instid0(VALU_DEP_3) | instskip(NEXT) | instid1(VALU_DEP_4)
	v_add_co_u32 v3, vcc_lo, v32, v9
	v_add_co_ci_u32_e32 v9, vcc_lo, 0, v10, vcc_lo
	s_delay_alu instid0(VALU_DEP_2) | instskip(NEXT) | instid1(VALU_DEP_2)
	v_add_co_u32 v3, vcc_lo, v3, v11
	v_add_co_ci_u32_e32 v3, vcc_lo, v9, v12, vcc_lo
	v_add_co_ci_u32_e32 v9, vcc_lo, 0, v27, vcc_lo
	s_delay_alu instid0(VALU_DEP_2) | instskip(NEXT) | instid1(VALU_DEP_2)
	v_add_co_u32 v3, vcc_lo, v3, v26
	v_add_co_ci_u32_e32 v11, vcc_lo, 0, v9, vcc_lo
	s_delay_alu instid0(VALU_DEP_2) | instskip(SKIP_1) | instid1(VALU_DEP_3)
	v_mul_lo_u32 v12, s11, v3
	v_mad_u64_u32 v[9:10], null, s10, v3, 0
	v_mul_lo_u32 v11, s10, v11
	s_delay_alu instid0(VALU_DEP_2) | instskip(NEXT) | instid1(VALU_DEP_2)
	v_sub_co_u32 v9, vcc_lo, v28, v9
	v_add3_u32 v10, v10, v11, v12
	v_add_co_u32 v12, s3, v3, 2
	s_delay_alu instid0(VALU_DEP_2) | instskip(NEXT) | instid1(VALU_DEP_1)
	v_sub_nc_u32_e32 v11, v31, v10
	v_subrev_co_ci_u32_e64 v11, s3, s11, v11, vcc_lo
	v_sub_co_u32 v26, s3, v9, s10
	v_sub_co_ci_u32_e32 v10, vcc_lo, v31, v10, vcc_lo
	s_delay_alu instid0(VALU_DEP_3) | instskip(NEXT) | instid1(VALU_DEP_3)
	v_subrev_co_ci_u32_e64 v11, s3, 0, v11, s3
	v_cmp_le_u32_e32 vcc_lo, s10, v26
	v_cndmask_b32_e64 v26, 0, -1, vcc_lo
	s_delay_alu instid0(VALU_DEP_3)
	v_cmp_le_u32_e32 vcc_lo, s11, v11
	v_cndmask_b32_e64 v27, 0, -1, vcc_lo
	v_cmp_le_u32_e32 vcc_lo, s10, v9
	v_cndmask_b32_e64 v9, 0, -1, vcc_lo
	;; [unrolled: 2-line block ×3, first 2 shown]
	v_cmp_eq_u32_e32 vcc_lo, s11, v11
	v_cndmask_b32_e32 v11, v27, v26, vcc_lo
	v_add_co_u32 v26, vcc_lo, v3, 1
	v_cmp_eq_u32_e32 vcc_lo, s11, v10
	v_cndmask_b32_e32 v9, v28, v9, vcc_lo
	s_delay_alu instid0(VALU_DEP_4) | instskip(NEXT) | instid1(VALU_DEP_4)
	v_cmp_ne_u32_e32 vcc_lo, 0, v11
	v_cndmask_b32_e32 v10, v26, v12, vcc_lo
	s_delay_alu instid0(VALU_DEP_3) | instskip(SKIP_1) | instid1(VALU_DEP_3)
	v_cmp_ne_u32_e32 vcc_lo, 0, v9
	v_xor_b32_e32 v9, s8, v30
	v_cndmask_b32_e32 v3, v3, v10, vcc_lo
	s_delay_alu instid0(VALU_DEP_1) | instskip(NEXT) | instid1(VALU_DEP_1)
	v_xor_b32_e32 v3, v3, v9
	v_sub_co_u32 v11, vcc_lo, v3, v9
                                        ; implicit-def: $vgpr9_vgpr10
.LBB17_20:                              ;   in Loop: Header=BB17_17 Depth=3
	s_and_not1_saveexec_b32 s3, s38
	s_cbranch_execz .LBB17_22
; %bb.21:                               ;   in Loop: Header=BB17_17 Depth=3
	v_cvt_f32_u32_e32 v3, s12
	s_sub_i32 s8, 0, s12
	s_delay_alu instid0(VALU_DEP_1) | instskip(SKIP_2) | instid1(VALU_DEP_1)
	v_rcp_iflag_f32_e32 v3, v3
	s_waitcnt_depctr 0xfff
	v_mul_f32_e32 v3, 0x4f7ffffe, v3
	v_cvt_u32_f32_e32 v3, v3
	s_delay_alu instid0(VALU_DEP_1) | instskip(NEXT) | instid1(VALU_DEP_1)
	v_mul_lo_u32 v10, s8, v3
	v_mul_hi_u32 v10, v3, v10
	s_delay_alu instid0(VALU_DEP_1) | instskip(NEXT) | instid1(VALU_DEP_1)
	v_add_nc_u32_e32 v3, v3, v10
	v_mul_hi_u32 v3, v9, v3
	s_delay_alu instid0(VALU_DEP_1) | instskip(NEXT) | instid1(VALU_DEP_1)
	v_mul_lo_u32 v10, v3, s12
	v_sub_nc_u32_e32 v9, v9, v10
	v_add_nc_u32_e32 v10, 1, v3
	s_delay_alu instid0(VALU_DEP_2) | instskip(SKIP_1) | instid1(VALU_DEP_2)
	v_subrev_nc_u32_e32 v11, s12, v9
	v_cmp_le_u32_e32 vcc_lo, s12, v9
	v_cndmask_b32_e32 v9, v9, v11, vcc_lo
	s_delay_alu instid0(VALU_DEP_4) | instskip(NEXT) | instid1(VALU_DEP_2)
	v_cndmask_b32_e32 v3, v3, v10, vcc_lo
	v_cmp_le_u32_e32 vcc_lo, s12, v9
	s_delay_alu instid0(VALU_DEP_2) | instskip(NEXT) | instid1(VALU_DEP_1)
	v_add_nc_u32_e32 v10, 1, v3
	v_cndmask_b32_e32 v11, v3, v10, vcc_lo
.LBB17_22:                              ;   in Loop: Header=BB17_17 Depth=3
	s_or_b32 exec_lo, exec_lo, s3
	global_load_u16 v26, v[7:8], off
	v_sub_nc_u32_e32 v3, 0, v0
	s_mov_b32 s38, 0
	s_delay_alu instid0(VALU_DEP_1) | instskip(NEXT) | instid1(VALU_DEP_1)
	v_max_i32_e32 v3, v0, v3
	v_mul_hi_u32 v9, v3, v16
	s_delay_alu instid0(VALU_DEP_1) | instskip(NEXT) | instid1(VALU_DEP_1)
	v_mul_lo_u32 v10, v9, s21
	v_sub_nc_u32_e32 v3, v3, v10
	s_delay_alu instid0(VALU_DEP_1) | instskip(SKIP_1) | instid1(VALU_DEP_2)
	v_subrev_nc_u32_e32 v12, s21, v3
	v_cmp_le_u32_e32 vcc_lo, s21, v3
	v_dual_cndmask_b32 v3, v3, v12 :: v_dual_add_nc_u32 v10, 1, v9
	s_delay_alu instid0(VALU_DEP_1) | instskip(SKIP_1) | instid1(VALU_DEP_3)
	v_cndmask_b32_e32 v9, v9, v10, vcc_lo
	v_ashrrev_i32_e32 v10, 31, v0
	v_cmp_le_u32_e32 vcc_lo, s21, v3
	s_delay_alu instid0(VALU_DEP_3) | instskip(NEXT) | instid1(VALU_DEP_3)
	v_add_nc_u32_e32 v12, 1, v9
	v_xor_b32_e32 v10, s25, v10
	s_delay_alu instid0(VALU_DEP_2) | instskip(NEXT) | instid1(VALU_DEP_1)
	v_cndmask_b32_e32 v3, v9, v12, vcc_lo
	v_xor_b32_e32 v3, v3, v10
	s_delay_alu instid0(VALU_DEP_1) | instskip(NEXT) | instid1(VALU_DEP_1)
	v_sub_nc_u32_e32 v3, v3, v10
	v_mul_lo_u32 v9, v3, s6
	v_mul_lo_u32 v3, v3, s4
	s_delay_alu instid0(VALU_DEP_2) | instskip(NEXT) | instid1(VALU_DEP_1)
	v_sub_nc_u32_e32 v0, v0, v9
	v_mul_lo_u32 v0, v0, s4
	s_delay_alu instid0(VALU_DEP_1) | instskip(NEXT) | instid1(VALU_DEP_1)
	v_sub_nc_u32_e32 v9, 0, v0
	v_max_i32_e32 v9, v0, v9
	v_ashrrev_i32_e32 v0, 31, v0
	s_delay_alu instid0(VALU_DEP_2) | instskip(NEXT) | instid1(VALU_DEP_2)
	v_mul_hi_u32 v10, v9, v16
	v_xor_b32_e32 v0, s25, v0
	s_delay_alu instid0(VALU_DEP_2) | instskip(NEXT) | instid1(VALU_DEP_1)
	v_mul_lo_u32 v12, v10, s21
	v_sub_nc_u32_e32 v9, v9, v12
	v_add_nc_u32_e32 v12, 1, v10
	s_delay_alu instid0(VALU_DEP_2) | instskip(SKIP_1) | instid1(VALU_DEP_2)
	v_subrev_nc_u32_e32 v27, s21, v9
	v_cmp_le_u32_e32 vcc_lo, s21, v9
	v_dual_cndmask_b32 v10, v10, v12 :: v_dual_cndmask_b32 v9, v9, v27
	s_delay_alu instid0(VALU_DEP_1) | instskip(NEXT) | instid1(VALU_DEP_2)
	v_add_nc_u32_e32 v12, 1, v10
	v_cmp_le_u32_e32 vcc_lo, s21, v9
	s_delay_alu instid0(VALU_DEP_2) | instskip(NEXT) | instid1(VALU_DEP_1)
	v_cndmask_b32_e32 v9, v10, v12, vcc_lo
	v_xor_b32_e32 v9, v9, v0
	s_delay_alu instid0(VALU_DEP_1) | instskip(SKIP_1) | instid1(VALU_DEP_1)
	v_sub_nc_u32_e32 v0, v9, v0
	v_not_b32_e32 v9, v11
	v_add3_u32 v0, v0, v3, v9
	v_add_nc_u32_e32 v3, 1, v6
	s_delay_alu instid0(VALU_DEP_2) | instskip(NEXT) | instid1(VALU_DEP_1)
	v_cvt_f32_i32_e32 v0, v0
	v_cvt_f16_f32_e32 v27, v0
	v_mov_b32_e32 v0, v6
	s_delay_alu instid0(VALU_DEP_4)
	v_mad_i64_i32 v[9:10], null, s29, v3, -1
	s_branch .LBB17_24
.LBB17_23:                              ;   in Loop: Header=BB17_24 Depth=4
	s_or_b32 exec_lo, exec_lo, s3
	v_add_nc_u32_e32 v28, v24, v0
	v_sub_nc_u32_e32 v12, 0, v0
	v_cvt_f32_f16_e32 v32, v27
	v_not_b32_e32 v11, v11
	v_add_co_u32 v9, s3, v9, s29
	v_ashrrev_i32_e32 v29, 31, v28
	v_max_i32_e32 v12, v0, v12
	v_rcp_f32_e32 v32, v32
	v_add_co_ci_u32_e64 v10, s3, s28, v10, s3
	s_delay_alu instid0(VALU_DEP_3) | instskip(NEXT) | instid1(VALU_DEP_1)
	v_lshlrev_b64 v[28:29], 1, v[28:29]
	v_add_co_u32 v28, vcc_lo, s14, v28
	s_delay_alu instid0(VALU_DEP_2) | instskip(SKIP_2) | instid1(VALU_DEP_1)
	v_add_co_ci_u32_e32 v29, vcc_lo, s15, v29, vcc_lo
	global_load_u16 v3, v[28:29], off
	v_mul_hi_u32 v28, v12, v17
	v_mul_lo_u32 v29, v28, s22
	s_delay_alu instid0(VALU_DEP_1) | instskip(NEXT) | instid1(VALU_DEP_1)
	v_sub_nc_u32_e32 v12, v12, v29
	v_subrev_nc_u32_e32 v30, s22, v12
	v_cmp_le_u32_e32 vcc_lo, s22, v12
	s_delay_alu instid0(VALU_DEP_2) | instskip(NEXT) | instid1(VALU_DEP_1)
	v_dual_cndmask_b32 v12, v12, v30 :: v_dual_add_nc_u32 v29, 1, v28
	v_cndmask_b32_e32 v28, v28, v29, vcc_lo
	v_ashrrev_i32_e32 v29, 31, v0
	s_delay_alu instid0(VALU_DEP_3) | instskip(NEXT) | instid1(VALU_DEP_3)
	v_cmp_le_u32_e32 vcc_lo, s22, v12
	v_add_nc_u32_e32 v30, 1, v28
	s_delay_alu instid0(VALU_DEP_3) | instskip(NEXT) | instid1(VALU_DEP_2)
	v_xor_b32_e32 v29, s27, v29
	v_cndmask_b32_e32 v12, v28, v30, vcc_lo
	s_delay_alu instid0(VALU_DEP_1) | instskip(NEXT) | instid1(VALU_DEP_1)
	v_xor_b32_e32 v12, v12, v29
	v_sub_nc_u32_e32 v12, v12, v29
	s_delay_alu instid0(VALU_DEP_1) | instskip(SKIP_2) | instid1(VALU_DEP_3)
	v_mad_u64_u32 v[28:29], null, s31, v12, v[0:1]
	v_mul_lo_u32 v12, v12, s5
	v_add_nc_u32_e32 v0, 1, v0
	v_mul_lo_u32 v28, v28, s5
	s_delay_alu instid0(VALU_DEP_1) | instskip(NEXT) | instid1(VALU_DEP_1)
	v_sub_nc_u32_e32 v29, 0, v28
	v_max_i32_e32 v29, v28, v29
	v_ashrrev_i32_e32 v28, 31, v28
	s_delay_alu instid0(VALU_DEP_2) | instskip(NEXT) | instid1(VALU_DEP_2)
	v_mul_hi_u32 v30, v29, v17
	v_xor_b32_e32 v28, s27, v28
	s_delay_alu instid0(VALU_DEP_2) | instskip(NEXT) | instid1(VALU_DEP_1)
	v_mul_lo_u32 v31, v30, s22
	v_sub_nc_u32_e32 v29, v29, v31
	v_add_nc_u32_e32 v31, 1, v30
	s_delay_alu instid0(VALU_DEP_2) | instskip(SKIP_1) | instid1(VALU_DEP_2)
	v_subrev_nc_u32_e32 v33, s22, v29
	v_cmp_le_u32_e32 vcc_lo, s22, v29
	v_dual_cndmask_b32 v30, v30, v31 :: v_dual_cndmask_b32 v29, v29, v33
	s_delay_alu instid0(VALU_DEP_1) | instskip(NEXT) | instid1(VALU_DEP_2)
	v_add_nc_u32_e32 v33, 1, v30
	v_cmp_le_u32_e32 vcc_lo, s22, v29
	s_delay_alu instid0(VALU_DEP_2) | instskip(SKIP_1) | instid1(VALU_DEP_2)
	v_cndmask_b32_e32 v29, v30, v33, vcc_lo
	v_cmp_ge_i32_e32 vcc_lo, v0, v23
	v_xor_b32_e32 v29, v29, v28
	s_or_b32 s38, vcc_lo, s38
	s_delay_alu instid0(VALU_DEP_1) | instskip(NEXT) | instid1(VALU_DEP_1)
	v_sub_nc_u32_e32 v28, v29, v28
	v_add3_u32 v11, v28, v12, v11
	s_delay_alu instid0(VALU_DEP_1) | instskip(NEXT) | instid1(VALU_DEP_1)
	v_cvt_f32_i32_e32 v11, v11
	v_cvt_f16_f32_e32 v11, v11
	s_delay_alu instid0(VALU_DEP_1) | instskip(NEXT) | instid1(VALU_DEP_1)
	v_cvt_f32_f16_e32 v28, v11
	v_rcp_f32_e32 v28, v28
	s_waitcnt vmcnt(0)
	v_cvt_f32_f16_e32 v31, v3
	s_delay_alu instid0(VALU_DEP_1) | instskip(NEXT) | instid1(VALU_DEP_1)
	v_mul_f32_e32 v31, v31, v32
	v_fma_mix_f32 v30, -v27, v31, v3 op_sel_hi:[1,0,1]
	s_delay_alu instid0(VALU_DEP_1) | instskip(NEXT) | instid1(VALU_DEP_1)
	v_fmac_f32_e32 v31, v30, v32
	v_fma_mix_f32 v29, -v27, v31, v3 op_sel_hi:[1,0,1]
	s_delay_alu instid0(VALU_DEP_1) | instskip(NEXT) | instid1(VALU_DEP_1)
	v_mul_f32_e32 v12, v29, v32
	v_and_b32_e32 v12, 0xff800000, v12
	s_delay_alu instid0(VALU_DEP_1) | instskip(NEXT) | instid1(VALU_DEP_1)
	v_add_f32_e32 v12, v12, v31
	v_cvt_f16_f32_e32 v12, v12
	s_delay_alu instid0(VALU_DEP_1) | instskip(NEXT) | instid1(VALU_DEP_1)
	v_div_fixup_f16 v3, v12, v27, v3
	v_cvt_f32_f16_e32 v12, v3
	s_delay_alu instid0(VALU_DEP_1) | instskip(NEXT) | instid1(VALU_DEP_1)
	v_mul_f32_e32 v12, v12, v28
	v_fma_mix_f32 v29, -v11, v12, v3 op_sel_hi:[1,0,1]
	s_delay_alu instid0(VALU_DEP_1) | instskip(NEXT) | instid1(VALU_DEP_1)
	v_fmac_f32_e32 v12, v29, v28
	v_fma_mix_f32 v29, -v11, v12, v3 op_sel_hi:[1,0,1]
	s_delay_alu instid0(VALU_DEP_1) | instskip(NEXT) | instid1(VALU_DEP_1)
	v_mul_f32_e32 v28, v29, v28
	v_and_b32_e32 v28, 0xff800000, v28
	s_delay_alu instid0(VALU_DEP_1) | instskip(NEXT) | instid1(VALU_DEP_1)
	v_add_f32_e32 v12, v28, v12
	v_cvt_f16_f32_e32 v12, v12
	s_delay_alu instid0(VALU_DEP_1) | instskip(NEXT) | instid1(VALU_DEP_1)
	v_div_fixup_f16 v3, v12, v11, v3
	v_add_f16_e32 v26, v26, v3
	global_store_b16 v[7:8], v26, off
	s_and_not1_b32 exec_lo, exec_lo, s38
	s_cbranch_execz .LBB17_16
.LBB17_24:                              ;   Parent Loop BB17_3 Depth=1
                                        ;     Parent Loop BB17_10 Depth=2
                                        ;       Parent Loop BB17_17 Depth=3
                                        ; =>      This Inner Loop Header: Depth=4
	s_delay_alu instid0(VALU_DEP_1) | instskip(SKIP_1) | instid1(VALU_DEP_1)
	v_or_b32_e32 v3, s27, v10
                                        ; implicit-def: $vgpr11_vgpr12
	s_mov_b32 s3, exec_lo
	v_cmpx_ne_u64_e32 0, v[2:3]
	s_xor_b32 s39, exec_lo, s3
	s_cbranch_execz .LBB17_26
; %bb.25:                               ;   in Loop: Header=BB17_24 Depth=4
	s_add_u32 s10, s16, s27
	s_mov_b32 s8, s27
	s_mov_b32 s9, s27
	s_addc_u32 s11, s27, s27
	s_delay_alu instid0(SALU_CYCLE_1) | instskip(NEXT) | instid1(SALU_CYCLE_1)
	s_xor_b64 s[10:11], s[10:11], s[8:9]
	v_cvt_f32_u32_e32 v3, s10
	v_cvt_f32_u32_e32 v11, s11
	s_sub_u32 s3, 0, s10
	s_subb_u32 s9, 0, s11
	s_delay_alu instid0(VALU_DEP_1) | instskip(NEXT) | instid1(VALU_DEP_1)
	v_fmac_f32_e32 v3, 0x4f800000, v11
	v_rcp_f32_e32 v3, v3
	s_waitcnt_depctr 0xfff
	v_mul_f32_e32 v3, 0x5f7ffffc, v3
	s_delay_alu instid0(VALU_DEP_1) | instskip(NEXT) | instid1(VALU_DEP_1)
	v_mul_f32_e32 v11, 0x2f800000, v3
	v_trunc_f32_e32 v11, v11
	s_delay_alu instid0(VALU_DEP_1) | instskip(SKIP_1) | instid1(VALU_DEP_2)
	v_fmac_f32_e32 v3, 0xcf800000, v11
	v_cvt_u32_f32_e32 v11, v11
	v_cvt_u32_f32_e32 v3, v3
	s_delay_alu instid0(VALU_DEP_2) | instskip(NEXT) | instid1(VALU_DEP_2)
	v_mul_lo_u32 v12, s3, v11
	v_mul_hi_u32 v28, s3, v3
	v_mul_lo_u32 v29, s9, v3
	s_delay_alu instid0(VALU_DEP_2) | instskip(SKIP_1) | instid1(VALU_DEP_2)
	v_add_nc_u32_e32 v12, v28, v12
	v_mul_lo_u32 v28, s3, v3
	v_add_nc_u32_e32 v12, v12, v29
	s_delay_alu instid0(VALU_DEP_2) | instskip(NEXT) | instid1(VALU_DEP_2)
	v_mul_hi_u32 v29, v3, v28
	v_mul_lo_u32 v30, v3, v12
	v_mul_hi_u32 v31, v3, v12
	v_mul_hi_u32 v32, v11, v28
	v_mul_lo_u32 v28, v11, v28
	v_mul_hi_u32 v33, v11, v12
	v_mul_lo_u32 v12, v11, v12
	v_add_co_u32 v29, vcc_lo, v29, v30
	v_add_co_ci_u32_e32 v30, vcc_lo, 0, v31, vcc_lo
	s_delay_alu instid0(VALU_DEP_2) | instskip(NEXT) | instid1(VALU_DEP_2)
	v_add_co_u32 v28, vcc_lo, v29, v28
	v_add_co_ci_u32_e32 v28, vcc_lo, v30, v32, vcc_lo
	v_add_co_ci_u32_e32 v29, vcc_lo, 0, v33, vcc_lo
	v_ashrrev_i32_e32 v32, 31, v10
	s_delay_alu instid0(VALU_DEP_3) | instskip(NEXT) | instid1(VALU_DEP_3)
	v_add_co_u32 v12, vcc_lo, v28, v12
	v_add_co_ci_u32_e32 v28, vcc_lo, 0, v29, vcc_lo
	s_delay_alu instid0(VALU_DEP_2) | instskip(NEXT) | instid1(VALU_DEP_2)
	v_add_co_u32 v3, vcc_lo, v3, v12
	v_add_co_ci_u32_e32 v11, vcc_lo, v11, v28, vcc_lo
	s_delay_alu instid0(VALU_DEP_2) | instskip(SKIP_1) | instid1(VALU_DEP_3)
	v_mul_hi_u32 v12, s3, v3
	v_mul_lo_u32 v29, s9, v3
	v_mul_lo_u32 v28, s3, v11
	s_delay_alu instid0(VALU_DEP_1) | instskip(SKIP_1) | instid1(VALU_DEP_2)
	v_add_nc_u32_e32 v12, v12, v28
	v_mul_lo_u32 v28, s3, v3
	v_add_nc_u32_e32 v12, v12, v29
	s_delay_alu instid0(VALU_DEP_2) | instskip(NEXT) | instid1(VALU_DEP_2)
	v_mul_hi_u32 v29, v3, v28
	v_mul_lo_u32 v30, v3, v12
	v_mul_hi_u32 v31, v3, v12
	v_mul_hi_u32 v33, v11, v28
	v_mul_lo_u32 v28, v11, v28
	v_mul_hi_u32 v34, v11, v12
	v_mul_lo_u32 v12, v11, v12
	v_add_co_u32 v29, vcc_lo, v29, v30
	v_add_co_ci_u32_e32 v30, vcc_lo, 0, v31, vcc_lo
	s_delay_alu instid0(VALU_DEP_2) | instskip(NEXT) | instid1(VALU_DEP_2)
	v_add_co_u32 v28, vcc_lo, v29, v28
	v_add_co_ci_u32_e32 v28, vcc_lo, v30, v33, vcc_lo
	v_add_co_ci_u32_e32 v29, vcc_lo, 0, v34, vcc_lo
	v_add_co_u32 v30, vcc_lo, v9, v32
	v_add_co_ci_u32_e32 v31, vcc_lo, v10, v32, vcc_lo
	s_delay_alu instid0(VALU_DEP_4) | instskip(NEXT) | instid1(VALU_DEP_4)
	v_add_co_u32 v12, vcc_lo, v28, v12
	v_add_co_ci_u32_e32 v28, vcc_lo, 0, v29, vcc_lo
	s_delay_alu instid0(VALU_DEP_4) | instskip(NEXT) | instid1(VALU_DEP_3)
	v_xor_b32_e32 v33, v30, v32
	v_add_co_u32 v3, vcc_lo, v3, v12
	s_delay_alu instid0(VALU_DEP_3) | instskip(SKIP_1) | instid1(VALU_DEP_3)
	v_add_co_ci_u32_e32 v34, vcc_lo, v11, v28, vcc_lo
	v_xor_b32_e32 v35, v31, v32
	v_mul_hi_u32 v36, v33, v3
	s_delay_alu instid0(VALU_DEP_3) | instskip(NEXT) | instid1(VALU_DEP_3)
	v_mad_u64_u32 v[11:12], null, v33, v34, 0
	v_mad_u64_u32 v[28:29], null, v35, v3, 0
	;; [unrolled: 1-line block ×3, first 2 shown]
	s_delay_alu instid0(VALU_DEP_3) | instskip(NEXT) | instid1(VALU_DEP_4)
	v_add_co_u32 v3, vcc_lo, v36, v11
	v_add_co_ci_u32_e32 v11, vcc_lo, 0, v12, vcc_lo
	s_delay_alu instid0(VALU_DEP_2) | instskip(NEXT) | instid1(VALU_DEP_2)
	v_add_co_u32 v3, vcc_lo, v3, v28
	v_add_co_ci_u32_e32 v3, vcc_lo, v11, v29, vcc_lo
	v_add_co_ci_u32_e32 v11, vcc_lo, 0, v31, vcc_lo
	s_delay_alu instid0(VALU_DEP_2) | instskip(NEXT) | instid1(VALU_DEP_2)
	v_add_co_u32 v3, vcc_lo, v3, v30
	v_add_co_ci_u32_e32 v28, vcc_lo, 0, v11, vcc_lo
	s_delay_alu instid0(VALU_DEP_2) | instskip(SKIP_1) | instid1(VALU_DEP_3)
	v_mul_lo_u32 v29, s11, v3
	v_mad_u64_u32 v[11:12], null, s10, v3, 0
	v_mul_lo_u32 v28, s10, v28
	s_delay_alu instid0(VALU_DEP_2) | instskip(NEXT) | instid1(VALU_DEP_2)
	v_sub_co_u32 v11, vcc_lo, v33, v11
	v_add3_u32 v12, v12, v28, v29
	v_add_co_u32 v29, s3, v3, 2
	s_delay_alu instid0(VALU_DEP_2) | instskip(NEXT) | instid1(VALU_DEP_1)
	v_sub_nc_u32_e32 v28, v35, v12
	v_subrev_co_ci_u32_e64 v28, s3, s11, v28, vcc_lo
	v_sub_co_u32 v30, s3, v11, s10
	v_sub_co_ci_u32_e32 v12, vcc_lo, v35, v12, vcc_lo
	s_delay_alu instid0(VALU_DEP_3) | instskip(NEXT) | instid1(VALU_DEP_3)
	v_subrev_co_ci_u32_e64 v28, s3, 0, v28, s3
	v_cmp_le_u32_e32 vcc_lo, s10, v30
	v_cndmask_b32_e64 v30, 0, -1, vcc_lo
	s_delay_alu instid0(VALU_DEP_3)
	v_cmp_le_u32_e32 vcc_lo, s11, v28
	v_cndmask_b32_e64 v31, 0, -1, vcc_lo
	v_cmp_le_u32_e32 vcc_lo, s10, v11
	v_cndmask_b32_e64 v11, 0, -1, vcc_lo
	;; [unrolled: 2-line block ×3, first 2 shown]
	v_cmp_eq_u32_e32 vcc_lo, s11, v28
	v_cndmask_b32_e32 v28, v31, v30, vcc_lo
	v_add_co_u32 v30, vcc_lo, v3, 1
	v_cmp_eq_u32_e32 vcc_lo, s11, v12
	v_cndmask_b32_e32 v11, v33, v11, vcc_lo
	s_delay_alu instid0(VALU_DEP_4) | instskip(NEXT) | instid1(VALU_DEP_4)
	v_cmp_ne_u32_e32 vcc_lo, 0, v28
	v_cndmask_b32_e32 v12, v30, v29, vcc_lo
	s_delay_alu instid0(VALU_DEP_3) | instskip(SKIP_1) | instid1(VALU_DEP_3)
	v_cmp_ne_u32_e32 vcc_lo, 0, v11
	v_xor_b32_e32 v11, s8, v32
	v_cndmask_b32_e32 v3, v3, v12, vcc_lo
	s_delay_alu instid0(VALU_DEP_1) | instskip(NEXT) | instid1(VALU_DEP_1)
	v_xor_b32_e32 v3, v3, v11
	v_sub_co_u32 v11, vcc_lo, v3, v11
.LBB17_26:                              ;   in Loop: Header=BB17_24 Depth=4
	s_and_not1_saveexec_b32 s3, s39
	s_cbranch_execz .LBB17_23
; %bb.27:                               ;   in Loop: Header=BB17_24 Depth=4
	v_cvt_f32_u32_e32 v3, s16
	s_sub_i32 s8, 0, s16
	s_delay_alu instid0(VALU_DEP_1) | instskip(SKIP_2) | instid1(VALU_DEP_1)
	v_rcp_iflag_f32_e32 v3, v3
	s_waitcnt_depctr 0xfff
	v_mul_f32_e32 v3, 0x4f7ffffe, v3
	v_cvt_u32_f32_e32 v3, v3
	s_delay_alu instid0(VALU_DEP_1) | instskip(NEXT) | instid1(VALU_DEP_1)
	v_mul_lo_u32 v11, s8, v3
	v_mul_hi_u32 v11, v3, v11
	s_delay_alu instid0(VALU_DEP_1) | instskip(NEXT) | instid1(VALU_DEP_1)
	v_add_nc_u32_e32 v3, v3, v11
	v_mul_hi_u32 v3, v9, v3
	s_delay_alu instid0(VALU_DEP_1) | instskip(NEXT) | instid1(VALU_DEP_1)
	v_mul_lo_u32 v11, v3, s16
	v_sub_nc_u32_e32 v11, v9, v11
	s_delay_alu instid0(VALU_DEP_1) | instskip(SKIP_1) | instid1(VALU_DEP_2)
	v_subrev_nc_u32_e32 v28, s16, v11
	v_cmp_le_u32_e32 vcc_lo, s16, v11
	v_dual_cndmask_b32 v11, v11, v28 :: v_dual_add_nc_u32 v12, 1, v3
	s_delay_alu instid0(VALU_DEP_1) | instskip(NEXT) | instid1(VALU_DEP_2)
	v_cndmask_b32_e32 v3, v3, v12, vcc_lo
	v_cmp_le_u32_e32 vcc_lo, s16, v11
	s_delay_alu instid0(VALU_DEP_2) | instskip(NEXT) | instid1(VALU_DEP_1)
	v_add_nc_u32_e32 v12, 1, v3
	v_cndmask_b32_e32 v11, v3, v12, vcc_lo
	s_branch .LBB17_23
.LBB17_28:
	s_nop 0
	s_sendmsg sendmsg(MSG_DEALLOC_VGPRS)
	s_endpgm
	.section	.rodata,"a",@progbits
	.p2align	6, 0x0
	.amdhsa_kernel _ZN2at6native12_GLOBAL__N_126adaptive_average_gradinputIN3c104HalfEEEvPT_PKS5_iiii
		.amdhsa_group_segment_fixed_size 0
		.amdhsa_private_segment_fixed_size 0
		.amdhsa_kernarg_size 288
		.amdhsa_user_sgpr_count 14
		.amdhsa_user_sgpr_dispatch_ptr 0
		.amdhsa_user_sgpr_queue_ptr 0
		.amdhsa_user_sgpr_kernarg_segment_ptr 1
		.amdhsa_user_sgpr_dispatch_id 0
		.amdhsa_user_sgpr_private_segment_size 0
		.amdhsa_wavefront_size32 1
		.amdhsa_uses_dynamic_stack 0
		.amdhsa_enable_private_segment 0
		.amdhsa_system_sgpr_workgroup_id_x 1
		.amdhsa_system_sgpr_workgroup_id_y 1
		.amdhsa_system_sgpr_workgroup_id_z 0
		.amdhsa_system_sgpr_workgroup_info 0
		.amdhsa_system_vgpr_workitem_id 1
		.amdhsa_next_free_vgpr 37
		.amdhsa_next_free_sgpr 40
		.amdhsa_reserve_vcc 1
		.amdhsa_float_round_mode_32 0
		.amdhsa_float_round_mode_16_64 0
		.amdhsa_float_denorm_mode_32 3
		.amdhsa_float_denorm_mode_16_64 3
		.amdhsa_dx10_clamp 1
		.amdhsa_ieee_mode 1
		.amdhsa_fp16_overflow 0
		.amdhsa_workgroup_processor_mode 1
		.amdhsa_memory_ordered 1
		.amdhsa_forward_progress 0
		.amdhsa_shared_vgpr_count 0
		.amdhsa_exception_fp_ieee_invalid_op 0
		.amdhsa_exception_fp_denorm_src 0
		.amdhsa_exception_fp_ieee_div_zero 0
		.amdhsa_exception_fp_ieee_overflow 0
		.amdhsa_exception_fp_ieee_underflow 0
		.amdhsa_exception_fp_ieee_inexact 0
		.amdhsa_exception_int_div_zero 0
	.end_amdhsa_kernel
	.section	.text._ZN2at6native12_GLOBAL__N_126adaptive_average_gradinputIN3c104HalfEEEvPT_PKS5_iiii,"axG",@progbits,_ZN2at6native12_GLOBAL__N_126adaptive_average_gradinputIN3c104HalfEEEvPT_PKS5_iiii,comdat
.Lfunc_end17:
	.size	_ZN2at6native12_GLOBAL__N_126adaptive_average_gradinputIN3c104HalfEEEvPT_PKS5_iiii, .Lfunc_end17-_ZN2at6native12_GLOBAL__N_126adaptive_average_gradinputIN3c104HalfEEEvPT_PKS5_iiii
                                        ; -- End function
	.section	.AMDGPU.csdata,"",@progbits
; Kernel info:
; codeLenInByte = 5832
; NumSgprs: 42
; NumVgprs: 37
; ScratchSize: 0
; MemoryBound: 0
; FloatMode: 240
; IeeeMode: 1
; LDSByteSize: 0 bytes/workgroup (compile time only)
; SGPRBlocks: 5
; VGPRBlocks: 4
; NumSGPRsForWavesPerEU: 42
; NumVGPRsForWavesPerEU: 37
; Occupancy: 16
; WaveLimiterHint : 0
; COMPUTE_PGM_RSRC2:SCRATCH_EN: 0
; COMPUTE_PGM_RSRC2:USER_SGPR: 14
; COMPUTE_PGM_RSRC2:TRAP_HANDLER: 0
; COMPUTE_PGM_RSRC2:TGID_X_EN: 1
; COMPUTE_PGM_RSRC2:TGID_Y_EN: 1
; COMPUTE_PGM_RSRC2:TGID_Z_EN: 0
; COMPUTE_PGM_RSRC2:TIDIG_COMP_CNT: 1
	.section	.text._ZN2at6native12_GLOBAL__N_133atomic_adaptive_average_gradinputIN3c108BFloat16EEEvPT_PKS5_iiii,"axG",@progbits,_ZN2at6native12_GLOBAL__N_133atomic_adaptive_average_gradinputIN3c108BFloat16EEEvPT_PKS5_iiii,comdat
	.globl	_ZN2at6native12_GLOBAL__N_133atomic_adaptive_average_gradinputIN3c108BFloat16EEEvPT_PKS5_iiii ; -- Begin function _ZN2at6native12_GLOBAL__N_133atomic_adaptive_average_gradinputIN3c108BFloat16EEEvPT_PKS5_iiii
	.p2align	8
	.type	_ZN2at6native12_GLOBAL__N_133atomic_adaptive_average_gradinputIN3c108BFloat16EEEvPT_PKS5_iiii,@function
_ZN2at6native12_GLOBAL__N_133atomic_adaptive_average_gradinputIN3c108BFloat16EEEvPT_PKS5_iiii: ; @_ZN2at6native12_GLOBAL__N_133atomic_adaptive_average_gradinputIN3c108BFloat16EEEvPT_PKS5_iiii
; %bb.0:
	s_clause 0x1
	s_load_b32 s7, s[0:1], 0x2c
	s_load_b128 s[8:11], s[0:1], 0x10
	v_bfe_u32 v3, v0, 10, 10
	s_add_u32 s4, s0, 32
	s_addc_u32 s5, s1, 0
	s_mov_b32 s2, exec_lo
	s_waitcnt lgkmcnt(0)
	s_lshr_b32 s12, s7, 16
	s_delay_alu instid0(SALU_CYCLE_1) | instskip(NEXT) | instid1(VALU_DEP_1)
	v_mad_u64_u32 v[1:2], null, s15, s12, v[3:4]
	v_cmpx_gt_i32_e64 s10, v1
	s_cbranch_execz .LBB18_26
; %bb.1:
	s_load_b128 s[0:3], s[0:1], 0x0
	s_mul_i32 s6, s14, s10
	s_mov_b32 s18, s10
	s_mul_i32 s16, s6, s11
	s_mul_i32 s6, s14, s8
	s_ashr_i32 s17, s16, 31
	s_mul_i32 s20, s6, s9
	s_lshl_b64 s[14:15], s[16:17], 1
	v_cvt_f32_u32_e32 v2, s18
	s_load_b32 s23, s[4:5], 0x4
	v_and_b32_e32 v0, 0x3ff, v0
	s_mov_b32 s6, s9
	s_mov_b32 s27, s11
	v_rcp_iflag_f32_e32 v2, v2
	s_mov_b32 s13, 0
	s_mov_b32 s28, 0
	s_waitcnt lgkmcnt(0)
	s_add_u32 s16, s2, s14
	s_addc_u32 s17, s3, s15
	s_ashr_i32 s21, s20, 31
	s_delay_alu instid0(SALU_CYCLE_1) | instskip(NEXT) | instid1(SALU_CYCLE_1)
	s_lshl_b64 s[2:3], s[20:21], 1
	s_add_u32 s19, s0, s2
	s_addc_u32 s20, s1, s3
	s_abs_i32 s21, s10
	s_abs_i32 s22, s11
	v_cvt_f32_u32_e32 v3, s21
	v_cvt_f32_u32_e32 v4, s22
	s_sub_i32 s0, 0, s10
	s_sub_i32 s1, 0, s21
	s_sub_i32 s2, 0, s22
	v_rcp_iflag_f32_e32 v3, v3
	v_rcp_iflag_f32_e32 v4, v4
	v_mul_f32_e32 v2, 0x4f7ffffe, v2
	s_mul_i32 s23, s23, s12
	s_and_b32 s24, s7, 0xffff
	s_ashr_i32 s25, s10, 31
	s_ashr_i32 s7, s9, 31
	s_ashr_i32 s26, s11, 31
	s_waitcnt_depctr 0xfff
	v_dual_mul_f32 v3, 0x4f7ffffe, v3 :: v_dual_mul_f32 v4, 0x4f7ffffe, v4
	v_cvt_u32_f32_e32 v2, v2
	s_delay_alu instid0(VALU_DEP_2) | instskip(SKIP_1) | instid1(VALU_DEP_4)
	v_cvt_u32_f32_e32 v5, v3
	v_mov_b32_e32 v3, 0
	v_cvt_u32_f32_e32 v4, v4
	s_delay_alu instid0(VALU_DEP_4) | instskip(SKIP_2) | instid1(VALU_DEP_4)
	v_mul_lo_u32 v6, s0, v2
	v_cmp_gt_i32_e64 s0, s11, v0
	v_mul_lo_u32 v7, s1, v5
	v_mul_lo_u32 v8, s2, v4
	s_delay_alu instid0(VALU_DEP_4) | instskip(NEXT) | instid1(VALU_DEP_3)
	v_mul_hi_u32 v6, v2, v6
	v_mul_hi_u32 v7, v5, v7
	s_delay_alu instid0(VALU_DEP_3) | instskip(NEXT) | instid1(VALU_DEP_3)
	v_mul_hi_u32 v8, v4, v8
	v_add_nc_u32_e32 v11, v2, v6
	s_delay_alu instid0(VALU_DEP_3) | instskip(NEXT) | instid1(VALU_DEP_3)
	v_add_nc_u32_e32 v9, v5, v7
	v_add_nc_u32_e32 v10, v4, v8
	s_branch .LBB18_3
.LBB18_2:                               ;   in Loop: Header=BB18_3 Depth=1
	s_or_b32 exec_lo, exec_lo, s29
	v_add_nc_u32_e32 v1, s23, v1
	s_delay_alu instid0(VALU_DEP_1) | instskip(SKIP_1) | instid1(SALU_CYCLE_1)
	v_cmp_le_i32_e32 vcc_lo, s10, v1
	s_or_b32 s28, vcc_lo, s28
	s_and_not1_b32 exec_lo, exec_lo, s28
	s_cbranch_execz .LBB18_26
.LBB18_3:                               ; =>This Loop Header: Depth=1
                                        ;     Child Loop BB18_10 Depth 2
                                        ;       Child Loop BB18_17 Depth 3
                                        ;         Child Loop BB18_20 Depth 4
                                        ;           Child Loop BB18_22 Depth 5
	s_and_saveexec_b32 s29, s0
	s_cbranch_execz .LBB18_2
; %bb.4:                                ;   in Loop: Header=BB18_3 Depth=1
	v_add_nc_u32_e32 v2, 1, v1
	v_mov_b32_e32 v6, v3
	s_delay_alu instid0(VALU_DEP_2) | instskip(NEXT) | instid1(VALU_DEP_1)
	v_mad_i64_i32 v[4:5], null, v2, s8, -1
	v_or_b32_e32 v7, s25, v5
	s_delay_alu instid0(VALU_DEP_1) | instskip(SKIP_1) | instid1(SALU_CYCLE_1)
	v_cmp_ne_u64_e32 vcc_lo, 0, v[6:7]
                                        ; implicit-def: $vgpr6_vgpr7
	s_and_saveexec_b32 s1, vcc_lo
	s_xor_b32 s12, exec_lo, s1
	s_cbranch_execz .LBB18_6
; %bb.5:                                ;   in Loop: Header=BB18_3 Depth=1
	s_add_u32 s4, s18, s25
	s_mov_b32 s2, s25
	s_mov_b32 s3, s25
	s_addc_u32 s5, s25, s25
	s_delay_alu instid0(SALU_CYCLE_1) | instskip(NEXT) | instid1(SALU_CYCLE_1)
	s_xor_b64 s[4:5], s[4:5], s[2:3]
	v_cvt_f32_u32_e32 v2, s4
	v_cvt_f32_u32_e32 v6, s5
	s_sub_u32 s1, 0, s4
	s_subb_u32 s3, 0, s5
	s_delay_alu instid0(VALU_DEP_1) | instskip(NEXT) | instid1(VALU_DEP_1)
	v_fmac_f32_e32 v2, 0x4f800000, v6
	v_rcp_f32_e32 v2, v2
	s_waitcnt_depctr 0xfff
	v_mul_f32_e32 v2, 0x5f7ffffc, v2
	s_delay_alu instid0(VALU_DEP_1) | instskip(NEXT) | instid1(VALU_DEP_1)
	v_mul_f32_e32 v6, 0x2f800000, v2
	v_trunc_f32_e32 v6, v6
	s_delay_alu instid0(VALU_DEP_1) | instskip(SKIP_1) | instid1(VALU_DEP_2)
	v_fmac_f32_e32 v2, 0xcf800000, v6
	v_cvt_u32_f32_e32 v6, v6
	v_cvt_u32_f32_e32 v2, v2
	s_delay_alu instid0(VALU_DEP_2) | instskip(NEXT) | instid1(VALU_DEP_2)
	v_mul_lo_u32 v7, s1, v6
	v_mul_hi_u32 v8, s1, v2
	v_mul_lo_u32 v12, s3, v2
	s_delay_alu instid0(VALU_DEP_2) | instskip(SKIP_1) | instid1(VALU_DEP_2)
	v_add_nc_u32_e32 v7, v8, v7
	v_mul_lo_u32 v8, s1, v2
	v_add_nc_u32_e32 v7, v7, v12
	s_delay_alu instid0(VALU_DEP_2) | instskip(NEXT) | instid1(VALU_DEP_2)
	v_mul_hi_u32 v12, v2, v8
	v_mul_lo_u32 v13, v2, v7
	v_mul_hi_u32 v14, v2, v7
	v_mul_hi_u32 v15, v6, v8
	v_mul_lo_u32 v8, v6, v8
	v_mul_hi_u32 v16, v6, v7
	v_mul_lo_u32 v7, v6, v7
	v_add_co_u32 v12, vcc_lo, v12, v13
	v_add_co_ci_u32_e32 v13, vcc_lo, 0, v14, vcc_lo
	s_delay_alu instid0(VALU_DEP_2) | instskip(NEXT) | instid1(VALU_DEP_2)
	v_add_co_u32 v8, vcc_lo, v12, v8
	v_add_co_ci_u32_e32 v8, vcc_lo, v13, v15, vcc_lo
	v_add_co_ci_u32_e32 v12, vcc_lo, 0, v16, vcc_lo
	v_ashrrev_i32_e32 v15, 31, v5
	s_delay_alu instid0(VALU_DEP_3) | instskip(NEXT) | instid1(VALU_DEP_3)
	v_add_co_u32 v7, vcc_lo, v8, v7
	v_add_co_ci_u32_e32 v8, vcc_lo, 0, v12, vcc_lo
	s_delay_alu instid0(VALU_DEP_2) | instskip(NEXT) | instid1(VALU_DEP_2)
	v_add_co_u32 v2, vcc_lo, v2, v7
	v_add_co_ci_u32_e32 v6, vcc_lo, v6, v8, vcc_lo
	s_delay_alu instid0(VALU_DEP_2) | instskip(SKIP_1) | instid1(VALU_DEP_3)
	v_mul_hi_u32 v7, s1, v2
	v_mul_lo_u32 v12, s3, v2
	v_mul_lo_u32 v8, s1, v6
	s_delay_alu instid0(VALU_DEP_1) | instskip(SKIP_1) | instid1(VALU_DEP_2)
	v_add_nc_u32_e32 v7, v7, v8
	v_mul_lo_u32 v8, s1, v2
	v_add_nc_u32_e32 v7, v7, v12
	s_delay_alu instid0(VALU_DEP_2) | instskip(NEXT) | instid1(VALU_DEP_2)
	v_mul_hi_u32 v12, v2, v8
	v_mul_lo_u32 v13, v2, v7
	v_mul_hi_u32 v14, v2, v7
	v_mul_hi_u32 v16, v6, v8
	v_mul_lo_u32 v8, v6, v8
	v_mul_hi_u32 v17, v6, v7
	v_mul_lo_u32 v7, v6, v7
	v_add_co_u32 v12, vcc_lo, v12, v13
	v_add_co_ci_u32_e32 v13, vcc_lo, 0, v14, vcc_lo
	s_delay_alu instid0(VALU_DEP_2) | instskip(NEXT) | instid1(VALU_DEP_2)
	v_add_co_u32 v8, vcc_lo, v12, v8
	v_add_co_ci_u32_e32 v8, vcc_lo, v13, v16, vcc_lo
	v_add_co_ci_u32_e32 v12, vcc_lo, 0, v17, vcc_lo
	v_add_co_u32 v4, vcc_lo, v4, v15
	v_add_co_ci_u32_e32 v5, vcc_lo, v5, v15, vcc_lo
	s_delay_alu instid0(VALU_DEP_4) | instskip(NEXT) | instid1(VALU_DEP_4)
	v_add_co_u32 v7, vcc_lo, v8, v7
	v_add_co_ci_u32_e32 v8, vcc_lo, 0, v12, vcc_lo
	s_delay_alu instid0(VALU_DEP_4) | instskip(NEXT) | instid1(VALU_DEP_3)
	v_xor_b32_e32 v14, v4, v15
	v_add_co_u32 v2, vcc_lo, v2, v7
	s_delay_alu instid0(VALU_DEP_3) | instskip(SKIP_1) | instid1(VALU_DEP_3)
	v_add_co_ci_u32_e32 v8, vcc_lo, v6, v8, vcc_lo
	v_xor_b32_e32 v16, v5, v15
	v_mul_hi_u32 v17, v14, v2
	s_delay_alu instid0(VALU_DEP_3) | instskip(NEXT) | instid1(VALU_DEP_3)
	v_mad_u64_u32 v[4:5], null, v14, v8, 0
	v_mad_u64_u32 v[6:7], null, v16, v2, 0
	;; [unrolled: 1-line block ×3, first 2 shown]
	s_delay_alu instid0(VALU_DEP_3) | instskip(NEXT) | instid1(VALU_DEP_4)
	v_add_co_u32 v2, vcc_lo, v17, v4
	v_add_co_ci_u32_e32 v4, vcc_lo, 0, v5, vcc_lo
	s_delay_alu instid0(VALU_DEP_2) | instskip(NEXT) | instid1(VALU_DEP_2)
	v_add_co_u32 v2, vcc_lo, v2, v6
	v_add_co_ci_u32_e32 v2, vcc_lo, v4, v7, vcc_lo
	v_add_co_ci_u32_e32 v4, vcc_lo, 0, v13, vcc_lo
	s_delay_alu instid0(VALU_DEP_2) | instskip(NEXT) | instid1(VALU_DEP_2)
	v_add_co_u32 v2, vcc_lo, v2, v12
	v_add_co_ci_u32_e32 v6, vcc_lo, 0, v4, vcc_lo
	s_delay_alu instid0(VALU_DEP_2) | instskip(SKIP_1) | instid1(VALU_DEP_3)
	v_mul_lo_u32 v7, s5, v2
	v_mad_u64_u32 v[4:5], null, s4, v2, 0
	v_mul_lo_u32 v6, s4, v6
	s_delay_alu instid0(VALU_DEP_2) | instskip(NEXT) | instid1(VALU_DEP_2)
	v_sub_co_u32 v4, vcc_lo, v14, v4
	v_add3_u32 v5, v5, v6, v7
	v_add_co_u32 v7, s1, v2, 2
	s_delay_alu instid0(VALU_DEP_2) | instskip(NEXT) | instid1(VALU_DEP_1)
	v_sub_nc_u32_e32 v6, v16, v5
	v_subrev_co_ci_u32_e64 v6, s1, s5, v6, vcc_lo
	v_sub_co_u32 v8, s1, v4, s4
	v_sub_co_ci_u32_e32 v5, vcc_lo, v16, v5, vcc_lo
	s_delay_alu instid0(VALU_DEP_3) | instskip(NEXT) | instid1(VALU_DEP_3)
	v_subrev_co_ci_u32_e64 v6, s1, 0, v6, s1
	v_cmp_le_u32_e32 vcc_lo, s4, v8
	v_cndmask_b32_e64 v8, 0, -1, vcc_lo
	s_delay_alu instid0(VALU_DEP_3)
	v_cmp_le_u32_e32 vcc_lo, s5, v6
	v_cndmask_b32_e64 v12, 0, -1, vcc_lo
	v_cmp_le_u32_e32 vcc_lo, s4, v4
	v_cndmask_b32_e64 v4, 0, -1, vcc_lo
	;; [unrolled: 2-line block ×3, first 2 shown]
	v_cmp_eq_u32_e32 vcc_lo, s5, v6
	v_cndmask_b32_e32 v6, v12, v8, vcc_lo
	v_add_co_u32 v8, vcc_lo, v2, 1
	v_cmp_eq_u32_e32 vcc_lo, s5, v5
	v_cndmask_b32_e32 v4, v13, v4, vcc_lo
	s_delay_alu instid0(VALU_DEP_4) | instskip(NEXT) | instid1(VALU_DEP_4)
	v_cmp_ne_u32_e32 vcc_lo, 0, v6
	v_cndmask_b32_e32 v5, v8, v7, vcc_lo
	s_delay_alu instid0(VALU_DEP_3) | instskip(SKIP_1) | instid1(VALU_DEP_3)
	v_cmp_ne_u32_e32 vcc_lo, 0, v4
	v_xor_b32_e32 v4, s2, v15
	v_cndmask_b32_e32 v2, v2, v5, vcc_lo
	s_delay_alu instid0(VALU_DEP_1) | instskip(NEXT) | instid1(VALU_DEP_1)
	v_xor_b32_e32 v2, v2, v4
	v_sub_co_u32 v6, vcc_lo, v2, v4
                                        ; implicit-def: $vgpr4_vgpr5
.LBB18_6:                               ;   in Loop: Header=BB18_3 Depth=1
	s_and_not1_saveexec_b32 s1, s12
; %bb.7:                                ;   in Loop: Header=BB18_3 Depth=1
	s_delay_alu instid0(VALU_DEP_3) | instskip(NEXT) | instid1(VALU_DEP_1)
	v_mul_hi_u32 v2, v4, v11
	v_mul_lo_u32 v5, v2, s18
	s_delay_alu instid0(VALU_DEP_1) | instskip(SKIP_1) | instid1(VALU_DEP_2)
	v_sub_nc_u32_e32 v4, v4, v5
	v_add_nc_u32_e32 v5, 1, v2
	v_subrev_nc_u32_e32 v6, s18, v4
	v_cmp_le_u32_e32 vcc_lo, s18, v4
	s_delay_alu instid0(VALU_DEP_2) | instskip(NEXT) | instid1(VALU_DEP_4)
	v_cndmask_b32_e32 v4, v4, v6, vcc_lo
	v_cndmask_b32_e32 v2, v2, v5, vcc_lo
	s_delay_alu instid0(VALU_DEP_2) | instskip(NEXT) | instid1(VALU_DEP_2)
	v_cmp_le_u32_e32 vcc_lo, s18, v4
	v_add_nc_u32_e32 v5, 1, v2
	s_delay_alu instid0(VALU_DEP_1)
	v_cndmask_b32_e32 v6, v2, v5, vcc_lo
; %bb.8:                                ;   in Loop: Header=BB18_3 Depth=1
	s_or_b32 exec_lo, exec_lo, s1
	v_sub_nc_u32_e32 v2, 0, v1
	s_mov_b32 s30, 0
	s_delay_alu instid0(VALU_DEP_1) | instskip(NEXT) | instid1(VALU_DEP_1)
	v_max_i32_e32 v2, v1, v2
	v_mul_hi_u32 v4, v2, v9
	s_delay_alu instid0(VALU_DEP_1) | instskip(NEXT) | instid1(VALU_DEP_1)
	v_mul_lo_u32 v5, v4, s21
	v_sub_nc_u32_e32 v2, v2, v5
	s_delay_alu instid0(VALU_DEP_1) | instskip(SKIP_1) | instid1(VALU_DEP_2)
	v_subrev_nc_u32_e32 v7, s21, v2
	v_cmp_le_u32_e32 vcc_lo, s21, v2
	v_dual_cndmask_b32 v2, v2, v7 :: v_dual_add_nc_u32 v5, 1, v4
	s_delay_alu instid0(VALU_DEP_1) | instskip(SKIP_1) | instid1(VALU_DEP_3)
	v_cndmask_b32_e32 v4, v4, v5, vcc_lo
	v_ashrrev_i32_e32 v5, 31, v1
	v_cmp_le_u32_e32 vcc_lo, s21, v2
	s_delay_alu instid0(VALU_DEP_3) | instskip(NEXT) | instid1(VALU_DEP_3)
	v_add_nc_u32_e32 v7, 1, v4
	v_xor_b32_e32 v5, s25, v5
	s_delay_alu instid0(VALU_DEP_2) | instskip(NEXT) | instid1(VALU_DEP_1)
	v_cndmask_b32_e32 v2, v4, v7, vcc_lo
	v_xor_b32_e32 v2, v2, v5
	s_delay_alu instid0(VALU_DEP_1) | instskip(NEXT) | instid1(VALU_DEP_1)
	v_sub_nc_u32_e32 v7, v2, v5
	v_mul_lo_u32 v2, v7, s10
	s_delay_alu instid0(VALU_DEP_1) | instskip(NEXT) | instid1(VALU_DEP_1)
	v_sub_nc_u32_e32 v2, v1, v2
	v_mul_lo_u32 v2, v2, s8
	s_delay_alu instid0(VALU_DEP_1) | instskip(NEXT) | instid1(VALU_DEP_1)
	v_sub_nc_u32_e32 v4, 0, v2
	v_max_i32_e32 v4, v2, v4
	v_ashrrev_i32_e32 v2, 31, v2
	s_delay_alu instid0(VALU_DEP_2) | instskip(NEXT) | instid1(VALU_DEP_2)
	v_mul_hi_u32 v5, v4, v9
	v_xor_b32_e32 v2, s25, v2
	s_delay_alu instid0(VALU_DEP_2) | instskip(NEXT) | instid1(VALU_DEP_1)
	v_mul_lo_u32 v8, v5, s21
	v_sub_nc_u32_e32 v4, v4, v8
	v_add_nc_u32_e32 v8, 1, v5
	s_delay_alu instid0(VALU_DEP_2) | instskip(SKIP_1) | instid1(VALU_DEP_3)
	v_subrev_nc_u32_e32 v12, s21, v4
	v_cmp_le_u32_e32 vcc_lo, s21, v4
	v_cndmask_b32_e32 v5, v5, v8, vcc_lo
	s_delay_alu instid0(VALU_DEP_3) | instskip(NEXT) | instid1(VALU_DEP_2)
	v_cndmask_b32_e32 v4, v4, v12, vcc_lo
	v_add_nc_u32_e32 v8, 1, v5
	s_delay_alu instid0(VALU_DEP_2) | instskip(NEXT) | instid1(VALU_DEP_2)
	v_cmp_le_u32_e32 vcc_lo, s21, v4
	v_cndmask_b32_e32 v4, v5, v8, vcc_lo
	s_delay_alu instid0(VALU_DEP_1) | instskip(NEXT) | instid1(VALU_DEP_1)
	v_xor_b32_e32 v4, v4, v2
	v_sub_nc_u32_e32 v2, v4, v2
	s_delay_alu instid0(VALU_DEP_1) | instskip(SKIP_1) | instid1(VALU_DEP_2)
	v_mad_u64_u32 v[4:5], null, v7, s8, v[2:3]
	v_mul_lo_u32 v5, v1, s11
	v_sub_nc_u32_e32 v2, v6, v4
	v_mul_lo_u32 v7, v4, s9
	s_delay_alu instid0(VALU_DEP_3) | instskip(NEXT) | instid1(VALU_DEP_3)
	v_ashrrev_i32_e32 v6, 31, v5
	v_add_nc_u32_e32 v14, 1, v2
	v_cmp_gt_u32_e64 s1, 0x7fffffff, v2
	s_delay_alu instid0(VALU_DEP_3) | instskip(SKIP_1) | instid1(VALU_DEP_4)
	v_lshlrev_b64 v[4:5], 1, v[5:6]
	v_ashrrev_i32_e32 v8, 31, v7
	v_cvt_f32_i32_e32 v15, v14
	v_max_i32_e32 v14, 1, v14
	s_delay_alu instid0(VALU_DEP_4) | instskip(NEXT) | instid1(VALU_DEP_4)
	v_add_co_u32 v12, vcc_lo, s16, v4
	v_lshlrev_b64 v[6:7], 1, v[7:8]
	s_delay_alu instid0(VALU_DEP_4) | instskip(SKIP_2) | instid1(VALU_DEP_3)
	v_bfe_u32 v8, v15, 16, 1
	v_add_co_ci_u32_e32 v13, vcc_lo, s17, v5, vcc_lo
	v_mov_b32_e32 v4, v0
	v_add3_u32 v2, v15, v8, 0x7fff
	v_add_co_u32 v15, vcc_lo, s19, v6
	v_add_co_ci_u32_e32 v16, vcc_lo, s20, v7, vcc_lo
	s_delay_alu instid0(VALU_DEP_3)
	v_and_b32_e32 v17, 0xffff0000, v2
	s_branch .LBB18_10
.LBB18_9:                               ;   in Loop: Header=BB18_10 Depth=2
	s_or_b32 exec_lo, exec_lo, s31
	v_add_nc_u32_e32 v4, s24, v4
	s_delay_alu instid0(VALU_DEP_1) | instskip(SKIP_1) | instid1(SALU_CYCLE_1)
	v_cmp_le_i32_e32 vcc_lo, s11, v4
	s_or_b32 s30, vcc_lo, s30
	s_and_not1_b32 exec_lo, exec_lo, s30
	s_cbranch_execz .LBB18_2
.LBB18_10:                              ;   Parent Loop BB18_3 Depth=1
                                        ; =>  This Loop Header: Depth=2
                                        ;       Child Loop BB18_17 Depth 3
                                        ;         Child Loop BB18_20 Depth 4
                                        ;           Child Loop BB18_22 Depth 5
	s_and_saveexec_b32 s31, s1
	s_cbranch_execz .LBB18_9
; %bb.11:                               ;   in Loop: Header=BB18_10 Depth=2
	v_add_nc_u32_e32 v8, 1, v4
	s_delay_alu instid0(VALU_DEP_1) | instskip(NEXT) | instid1(VALU_DEP_1)
	v_mad_u64_u32 v[5:6], null, v8, s6, -1
	v_mov_b32_e32 v2, v6
	s_delay_alu instid0(VALU_DEP_1) | instskip(NEXT) | instid1(VALU_DEP_1)
	v_mad_u64_u32 v[6:7], null, v8, s7, v[2:3]
	v_mov_b32_e32 v2, v6
	v_mov_b32_e32 v6, v3
	s_delay_alu instid0(VALU_DEP_2) | instskip(NEXT) | instid1(VALU_DEP_1)
	v_or_b32_e32 v7, s26, v2
	v_cmp_ne_u64_e32 vcc_lo, 0, v[6:7]
                                        ; implicit-def: $vgpr7_vgpr8
	s_and_saveexec_b32 s2, vcc_lo
	s_delay_alu instid0(SALU_CYCLE_1)
	s_xor_b32 s3, exec_lo, s2
	s_cbranch_execz .LBB18_13
; %bb.12:                               ;   in Loop: Header=BB18_10 Depth=2
	s_add_u32 s14, s27, s26
	s_mov_b32 s4, s26
	s_mov_b32 s5, s26
	s_addc_u32 s15, s26, s26
	s_delay_alu instid0(SALU_CYCLE_1) | instskip(NEXT) | instid1(SALU_CYCLE_1)
	s_xor_b64 s[14:15], s[14:15], s[4:5]
	v_cvt_f32_u32_e32 v6, s14
	v_cvt_f32_u32_e32 v7, s15
	s_sub_u32 s2, 0, s14
	s_subb_u32 s5, 0, s15
	s_delay_alu instid0(VALU_DEP_1) | instskip(NEXT) | instid1(VALU_DEP_1)
	v_fmac_f32_e32 v6, 0x4f800000, v7
	v_rcp_f32_e32 v6, v6
	s_waitcnt_depctr 0xfff
	v_mul_f32_e32 v6, 0x5f7ffffc, v6
	s_delay_alu instid0(VALU_DEP_1) | instskip(NEXT) | instid1(VALU_DEP_1)
	v_mul_f32_e32 v7, 0x2f800000, v6
	v_trunc_f32_e32 v7, v7
	s_delay_alu instid0(VALU_DEP_1) | instskip(SKIP_1) | instid1(VALU_DEP_2)
	v_fmac_f32_e32 v6, 0xcf800000, v7
	v_cvt_u32_f32_e32 v7, v7
	v_cvt_u32_f32_e32 v6, v6
	s_delay_alu instid0(VALU_DEP_2) | instskip(NEXT) | instid1(VALU_DEP_2)
	v_mul_lo_u32 v8, s2, v7
	v_mul_hi_u32 v18, s2, v6
	v_mul_lo_u32 v19, s5, v6
	s_delay_alu instid0(VALU_DEP_2) | instskip(SKIP_1) | instid1(VALU_DEP_2)
	v_add_nc_u32_e32 v8, v18, v8
	v_mul_lo_u32 v18, s2, v6
	v_add_nc_u32_e32 v8, v8, v19
	s_delay_alu instid0(VALU_DEP_2) | instskip(NEXT) | instid1(VALU_DEP_2)
	v_mul_hi_u32 v19, v6, v18
	v_mul_lo_u32 v20, v6, v8
	v_mul_hi_u32 v21, v6, v8
	v_mul_hi_u32 v22, v7, v18
	v_mul_lo_u32 v18, v7, v18
	v_mul_hi_u32 v23, v7, v8
	v_mul_lo_u32 v8, v7, v8
	v_add_co_u32 v19, vcc_lo, v19, v20
	v_add_co_ci_u32_e32 v20, vcc_lo, 0, v21, vcc_lo
	s_delay_alu instid0(VALU_DEP_2) | instskip(NEXT) | instid1(VALU_DEP_2)
	v_add_co_u32 v18, vcc_lo, v19, v18
	v_add_co_ci_u32_e32 v18, vcc_lo, v20, v22, vcc_lo
	v_add_co_ci_u32_e32 v19, vcc_lo, 0, v23, vcc_lo
	v_ashrrev_i32_e32 v22, 31, v2
	s_delay_alu instid0(VALU_DEP_3) | instskip(NEXT) | instid1(VALU_DEP_3)
	v_add_co_u32 v8, vcc_lo, v18, v8
	v_add_co_ci_u32_e32 v18, vcc_lo, 0, v19, vcc_lo
	s_delay_alu instid0(VALU_DEP_2) | instskip(NEXT) | instid1(VALU_DEP_2)
	v_add_co_u32 v6, vcc_lo, v6, v8
	v_add_co_ci_u32_e32 v7, vcc_lo, v7, v18, vcc_lo
	s_delay_alu instid0(VALU_DEP_2) | instskip(SKIP_1) | instid1(VALU_DEP_3)
	v_mul_hi_u32 v8, s2, v6
	v_mul_lo_u32 v19, s5, v6
	v_mul_lo_u32 v18, s2, v7
	s_delay_alu instid0(VALU_DEP_1) | instskip(SKIP_1) | instid1(VALU_DEP_2)
	v_add_nc_u32_e32 v8, v8, v18
	v_mul_lo_u32 v18, s2, v6
	v_add_nc_u32_e32 v8, v8, v19
	s_delay_alu instid0(VALU_DEP_2) | instskip(NEXT) | instid1(VALU_DEP_2)
	v_mul_hi_u32 v19, v6, v18
	v_mul_lo_u32 v20, v6, v8
	v_mul_hi_u32 v21, v6, v8
	v_mul_hi_u32 v23, v7, v18
	v_mul_lo_u32 v18, v7, v18
	v_mul_hi_u32 v24, v7, v8
	v_mul_lo_u32 v8, v7, v8
	v_add_co_u32 v19, vcc_lo, v19, v20
	v_add_co_ci_u32_e32 v20, vcc_lo, 0, v21, vcc_lo
	s_delay_alu instid0(VALU_DEP_2) | instskip(NEXT) | instid1(VALU_DEP_2)
	v_add_co_u32 v18, vcc_lo, v19, v18
	v_add_co_ci_u32_e32 v18, vcc_lo, v20, v23, vcc_lo
	v_add_co_ci_u32_e32 v19, vcc_lo, 0, v24, vcc_lo
	v_add_co_u32 v5, vcc_lo, v5, v22
	v_add_co_ci_u32_e32 v2, vcc_lo, v2, v22, vcc_lo
	s_delay_alu instid0(VALU_DEP_4) | instskip(NEXT) | instid1(VALU_DEP_4)
	v_add_co_u32 v8, vcc_lo, v18, v8
	v_add_co_ci_u32_e32 v18, vcc_lo, 0, v19, vcc_lo
	s_delay_alu instid0(VALU_DEP_4) | instskip(NEXT) | instid1(VALU_DEP_3)
	v_xor_b32_e32 v20, v5, v22
	v_add_co_u32 v19, vcc_lo, v6, v8
	s_delay_alu instid0(VALU_DEP_3) | instskip(SKIP_1) | instid1(VALU_DEP_3)
	v_add_co_ci_u32_e32 v21, vcc_lo, v7, v18, vcc_lo
	v_xor_b32_e32 v2, v2, v22
	v_mul_hi_u32 v23, v20, v19
	s_delay_alu instid0(VALU_DEP_3) | instskip(NEXT) | instid1(VALU_DEP_3)
	v_mad_u64_u32 v[5:6], null, v20, v21, 0
	v_mad_u64_u32 v[7:8], null, v2, v19, 0
	;; [unrolled: 1-line block ×3, first 2 shown]
	s_delay_alu instid0(VALU_DEP_3) | instskip(NEXT) | instid1(VALU_DEP_4)
	v_add_co_u32 v5, vcc_lo, v23, v5
	v_add_co_ci_u32_e32 v6, vcc_lo, 0, v6, vcc_lo
	s_delay_alu instid0(VALU_DEP_2) | instskip(NEXT) | instid1(VALU_DEP_2)
	v_add_co_u32 v5, vcc_lo, v5, v7
	v_add_co_ci_u32_e32 v5, vcc_lo, v6, v8, vcc_lo
	v_add_co_ci_u32_e32 v6, vcc_lo, 0, v19, vcc_lo
	s_delay_alu instid0(VALU_DEP_2) | instskip(NEXT) | instid1(VALU_DEP_2)
	v_add_co_u32 v7, vcc_lo, v5, v18
	v_add_co_ci_u32_e32 v8, vcc_lo, 0, v6, vcc_lo
	s_delay_alu instid0(VALU_DEP_2) | instskip(SKIP_1) | instid1(VALU_DEP_3)
	v_mul_lo_u32 v18, s15, v7
	v_mad_u64_u32 v[5:6], null, s14, v7, 0
	v_mul_lo_u32 v8, s14, v8
	s_delay_alu instid0(VALU_DEP_2) | instskip(NEXT) | instid1(VALU_DEP_2)
	v_sub_co_u32 v5, vcc_lo, v20, v5
	v_add3_u32 v6, v6, v8, v18
	v_add_co_u32 v18, s2, v7, 2
	s_delay_alu instid0(VALU_DEP_2) | instskip(NEXT) | instid1(VALU_DEP_1)
	v_sub_nc_u32_e32 v8, v2, v6
	v_subrev_co_ci_u32_e64 v8, s2, s15, v8, vcc_lo
	v_sub_co_u32 v19, s2, v5, s14
	v_sub_co_ci_u32_e32 v2, vcc_lo, v2, v6, vcc_lo
	s_delay_alu instid0(VALU_DEP_3) | instskip(NEXT) | instid1(VALU_DEP_3)
	v_subrev_co_ci_u32_e64 v8, s2, 0, v8, s2
	v_cmp_le_u32_e32 vcc_lo, s14, v19
	v_cndmask_b32_e64 v6, 0, -1, vcc_lo
	s_delay_alu instid0(VALU_DEP_3)
	v_cmp_le_u32_e32 vcc_lo, s15, v8
	v_cndmask_b32_e64 v19, 0, -1, vcc_lo
	v_cmp_le_u32_e32 vcc_lo, s14, v5
	v_cndmask_b32_e64 v5, 0, -1, vcc_lo
	;; [unrolled: 2-line block ×3, first 2 shown]
	v_cmp_eq_u32_e32 vcc_lo, s15, v8
	v_cndmask_b32_e32 v6, v19, v6, vcc_lo
	v_add_co_u32 v8, vcc_lo, v7, 1
	v_cmp_eq_u32_e32 vcc_lo, s15, v2
	v_cndmask_b32_e32 v2, v20, v5, vcc_lo
	s_delay_alu instid0(VALU_DEP_4) | instskip(NEXT) | instid1(VALU_DEP_4)
	v_cmp_ne_u32_e32 vcc_lo, 0, v6
	v_cndmask_b32_e32 v5, v8, v18, vcc_lo
	s_delay_alu instid0(VALU_DEP_3) | instskip(NEXT) | instid1(VALU_DEP_2)
	v_cmp_ne_u32_e32 vcc_lo, 0, v2
	v_cndmask_b32_e32 v2, v7, v5, vcc_lo
	v_xor_b32_e32 v5, s4, v22
	s_delay_alu instid0(VALU_DEP_1) | instskip(NEXT) | instid1(VALU_DEP_1)
	v_xor_b32_e32 v2, v2, v5
	v_sub_co_u32 v7, vcc_lo, v2, v5
                                        ; implicit-def: $vgpr5_vgpr6
.LBB18_13:                              ;   in Loop: Header=BB18_10 Depth=2
	s_and_not1_saveexec_b32 s2, s3
	s_cbranch_execz .LBB18_15
; %bb.14:                               ;   in Loop: Header=BB18_10 Depth=2
	v_cvt_f32_u32_e32 v2, s27
	s_sub_i32 s3, 0, s27
	s_delay_alu instid0(VALU_DEP_1) | instskip(SKIP_2) | instid1(VALU_DEP_1)
	v_rcp_iflag_f32_e32 v2, v2
	s_waitcnt_depctr 0xfff
	v_mul_f32_e32 v2, 0x4f7ffffe, v2
	v_cvt_u32_f32_e32 v2, v2
	s_delay_alu instid0(VALU_DEP_1) | instskip(NEXT) | instid1(VALU_DEP_1)
	v_mul_lo_u32 v6, s3, v2
	v_mul_hi_u32 v6, v2, v6
	s_delay_alu instid0(VALU_DEP_1) | instskip(NEXT) | instid1(VALU_DEP_1)
	v_add_nc_u32_e32 v2, v2, v6
	v_mul_hi_u32 v2, v5, v2
	s_delay_alu instid0(VALU_DEP_1) | instskip(NEXT) | instid1(VALU_DEP_1)
	v_mul_lo_u32 v6, v2, s27
	v_sub_nc_u32_e32 v5, v5, v6
	v_add_nc_u32_e32 v6, 1, v2
	s_delay_alu instid0(VALU_DEP_2) | instskip(SKIP_1) | instid1(VALU_DEP_2)
	v_subrev_nc_u32_e32 v7, s27, v5
	v_cmp_le_u32_e32 vcc_lo, s27, v5
	v_dual_cndmask_b32 v5, v5, v7 :: v_dual_cndmask_b32 v2, v2, v6
	s_delay_alu instid0(VALU_DEP_1) | instskip(NEXT) | instid1(VALU_DEP_2)
	v_cmp_le_u32_e32 vcc_lo, s27, v5
	v_add_nc_u32_e32 v6, 1, v2
	s_delay_alu instid0(VALU_DEP_1)
	v_cndmask_b32_e32 v7, v2, v6, vcc_lo
.LBB18_15:                              ;   in Loop: Header=BB18_10 Depth=2
	s_or_b32 exec_lo, exec_lo, s2
	v_mov_b32_e32 v5, v3
	v_mul_lo_u32 v2, v4, s9
	s_mov_b32 s5, 0
	s_mov_b32 s14, 0
	s_delay_alu instid0(VALU_DEP_2) | instskip(NEXT) | instid1(VALU_DEP_1)
	v_lshlrev_b64 v[5:6], 1, v[4:5]
	v_add_co_u32 v5, vcc_lo, v12, v5
	s_delay_alu instid0(VALU_DEP_2) | instskip(SKIP_3) | instid1(VALU_DEP_2)
	v_add_co_ci_u32_e32 v6, vcc_lo, v13, v6, vcc_lo
	global_load_u16 v8, v[5:6], off
	v_sub_nc_u32_e32 v5, 0, v2
	v_mul_hi_u32 v6, v4, v10
	v_max_i32_e32 v5, v2, v5
	v_ashrrev_i32_e32 v2, 31, v2
	s_delay_alu instid0(VALU_DEP_3) | instskip(NEXT) | instid1(VALU_DEP_3)
	v_mul_lo_u32 v19, v6, s22
	v_mul_hi_u32 v18, v5, v10
	v_add_nc_u32_e32 v21, 1, v6
	s_delay_alu instid0(VALU_DEP_4) | instskip(NEXT) | instid1(VALU_DEP_4)
	v_xor_b32_e32 v2, s26, v2
	v_sub_nc_u32_e32 v19, v4, v19
	s_delay_alu instid0(VALU_DEP_4) | instskip(NEXT) | instid1(VALU_DEP_2)
	v_mul_lo_u32 v20, v18, s22
	v_cmp_le_u32_e32 vcc_lo, s22, v19
	s_delay_alu instid0(VALU_DEP_2) | instskip(SKIP_1) | instid1(VALU_DEP_2)
	v_sub_nc_u32_e32 v5, v5, v20
	v_add_nc_u32_e32 v20, 1, v18
	v_cmp_le_u32_e64 s2, s22, v5
	v_subrev_nc_u32_e32 v22, s22, v5
	s_delay_alu instid0(VALU_DEP_2) | instskip(SKIP_2) | instid1(VALU_DEP_4)
	v_cndmask_b32_e64 v18, v18, v20, s2
	v_cndmask_b32_e32 v6, v6, v21, vcc_lo
	v_subrev_nc_u32_e32 v21, s22, v19
	v_cndmask_b32_e64 v5, v5, v22, s2
	s_delay_alu instid0(VALU_DEP_2) | instskip(SKIP_2) | instid1(VALU_DEP_3)
	v_cndmask_b32_e32 v19, v19, v21, vcc_lo
	v_add_nc_u32_e32 v21, 1, v18
	v_add_nc_u32_e32 v20, 1, v6
	v_cmp_le_u32_e32 vcc_lo, s22, v19
	s_delay_alu instid0(VALU_DEP_2) | instskip(SKIP_1) | instid1(VALU_DEP_2)
	v_cndmask_b32_e32 v6, v6, v20, vcc_lo
	v_cmp_le_u32_e32 vcc_lo, s22, v5
	v_xor_b32_e32 v6, s26, v6
	v_cndmask_b32_e32 v5, v18, v21, vcc_lo
	s_delay_alu instid0(VALU_DEP_2) | instskip(NEXT) | instid1(VALU_DEP_2)
	v_subrev_nc_u32_e32 v18, s26, v6
	v_xor_b32_e32 v5, v5, v2
	s_delay_alu instid0(VALU_DEP_1) | instskip(NEXT) | instid1(VALU_DEP_1)
	v_sub_nc_u32_e32 v2, v5, v2
	v_mad_u64_u32 v[5:6], null, v18, s9, v[2:3]
	s_delay_alu instid0(VALU_DEP_1) | instskip(NEXT) | instid1(VALU_DEP_1)
	v_sub_nc_u32_e32 v2, v7, v5
	v_add_nc_u32_e32 v7, 1, v2
	s_delay_alu instid0(VALU_DEP_1) | instskip(NEXT) | instid1(VALU_DEP_1)
	v_cvt_f32_i32_e32 v6, v7
	v_bfe_u32 v18, v6, 16, 1
	s_delay_alu instid0(VALU_DEP_1) | instskip(NEXT) | instid1(VALU_DEP_1)
	v_add3_u32 v6, v6, v18, 0x7fff
	v_and_b32_e32 v6, 0xffff0000, v6
	s_waitcnt vmcnt(0)
	v_lshlrev_b32_e32 v8, 16, v8
	s_delay_alu instid0(VALU_DEP_1) | instskip(NEXT) | instid1(VALU_DEP_1)
	v_div_scale_f32 v18, null, v6, v6, v8
	v_rcp_f32_e32 v19, v18
	s_waitcnt_depctr 0xfff
	v_fma_f32 v20, -v18, v19, 1.0
	s_delay_alu instid0(VALU_DEP_1) | instskip(SKIP_1) | instid1(VALU_DEP_1)
	v_fmac_f32_e32 v19, v20, v19
	v_div_scale_f32 v21, vcc_lo, v8, v6, v8
	v_mul_f32_e32 v20, v21, v19
	s_delay_alu instid0(VALU_DEP_1) | instskip(NEXT) | instid1(VALU_DEP_1)
	v_fma_f32 v22, -v18, v20, v21
	v_fmac_f32_e32 v20, v22, v19
	s_delay_alu instid0(VALU_DEP_1) | instskip(NEXT) | instid1(VALU_DEP_1)
	v_fma_f32 v18, -v18, v20, v21
	v_div_fmas_f32 v18, v18, v19, v20
	s_delay_alu instid0(VALU_DEP_1) | instskip(NEXT) | instid1(VALU_DEP_1)
	v_div_fixup_f32 v6, v18, v6, v8
	v_bfe_u32 v8, v6, 16, 1
	v_cmp_o_f32_e32 vcc_lo, v6, v6
	s_delay_alu instid0(VALU_DEP_2) | instskip(NEXT) | instid1(VALU_DEP_1)
	v_add3_u32 v8, v6, v8, 0x7fff
	v_and_b32_e32 v8, 0xffff0000, v8
	s_delay_alu instid0(VALU_DEP_1) | instskip(NEXT) | instid1(VALU_DEP_1)
	v_cndmask_b32_e32 v6, 0x7fc00000, v8, vcc_lo
	v_div_scale_f32 v8, null, v17, v17, v6
	v_div_scale_f32 v20, vcc_lo, v6, v17, v6
	s_delay_alu instid0(VALU_DEP_2) | instskip(SKIP_2) | instid1(VALU_DEP_1)
	v_rcp_f32_e32 v18, v8
	s_waitcnt_depctr 0xfff
	v_fma_f32 v19, -v8, v18, 1.0
	v_fmac_f32_e32 v18, v19, v18
	s_delay_alu instid0(VALU_DEP_1) | instskip(NEXT) | instid1(VALU_DEP_1)
	v_mul_f32_e32 v19, v20, v18
	v_fma_f32 v21, -v8, v19, v20
	s_delay_alu instid0(VALU_DEP_1) | instskip(SKIP_1) | instid1(VALU_DEP_2)
	v_fmac_f32_e32 v19, v21, v18
	v_max_i32_e32 v21, 1, v7
	v_fma_f32 v8, -v8, v19, v20
	s_delay_alu instid0(VALU_DEP_1) | instskip(SKIP_1) | instid1(VALU_DEP_2)
	v_div_fmas_f32 v8, v8, v18, v19
	v_cmp_gt_u32_e32 vcc_lo, 0x7fffffff, v2
	v_div_fixup_f32 v8, v8, v17, v6
	v_ashrrev_i32_e32 v6, 31, v5
	s_delay_alu instid0(VALU_DEP_2) | instskip(NEXT) | instid1(VALU_DEP_2)
	v_bfe_u32 v18, v8, 16, 1
	v_lshlrev_b64 v[5:6], 1, v[5:6]
	s_delay_alu instid0(VALU_DEP_2) | instskip(NEXT) | instid1(VALU_DEP_1)
	v_add3_u32 v18, v8, v18, 0x7fff
	v_and_b32_e32 v2, 0xffff0000, v18
	s_delay_alu instid0(VALU_DEP_3) | instskip(NEXT) | instid1(VALU_DEP_1)
	v_add_co_u32 v18, s2, v15, v5
	v_add_co_ci_u32_e64 v19, s2, v16, v6, s2
	v_cmp_o_f32_e64 s2, v8, v8
	s_delay_alu instid0(VALU_DEP_1)
	v_cndmask_b32_e64 v20, 0x7fc00000, v2, s2
	s_branch .LBB18_17
.LBB18_16:                              ;   in Loop: Header=BB18_17 Depth=3
	s_or_b32 exec_lo, exec_lo, s15
	s_add_i32 s14, s14, 1
	s_lshl_b64 s[34:35], s[6:7], 1
	v_cmp_eq_u32_e64 s2, s14, v14
	v_add_co_u32 v18, s3, v18, s34
	s_delay_alu instid0(VALU_DEP_1) | instskip(NEXT) | instid1(VALU_DEP_3)
	v_add_co_ci_u32_e64 v19, s3, s35, v19, s3
	s_or_b32 s5, s2, s5
	s_delay_alu instid0(SALU_CYCLE_1)
	s_and_not1_b32 exec_lo, exec_lo, s5
	s_cbranch_execz .LBB18_9
.LBB18_17:                              ;   Parent Loop BB18_3 Depth=1
                                        ;     Parent Loop BB18_10 Depth=2
                                        ; =>    This Loop Header: Depth=3
                                        ;         Child Loop BB18_20 Depth 4
                                        ;           Child Loop BB18_22 Depth 5
	s_and_saveexec_b32 s15, vcc_lo
	s_cbranch_execz .LBB18_16
; %bb.18:                               ;   in Loop: Header=BB18_17 Depth=3
	s_mov_b32 s33, 0
	s_delay_alu instid0(SALU_CYCLE_1)
	s_mov_b32 s12, s33
	s_branch .LBB18_20
.LBB18_19:                              ;   in Loop: Header=BB18_20 Depth=4
	s_set_inst_prefetch_distance 0x2
	s_or_b32 exec_lo, exec_lo, s34
	s_add_i32 s12, s12, 1
	s_delay_alu instid0(SALU_CYCLE_1) | instskip(NEXT) | instid1(VALU_DEP_1)
	v_cmp_eq_u32_e64 s2, s12, v21
	s_or_b32 s33, s2, s33
	s_delay_alu instid0(SALU_CYCLE_1)
	s_and_not1_b32 exec_lo, exec_lo, s33
	s_cbranch_execz .LBB18_16
.LBB18_20:                              ;   Parent Loop BB18_3 Depth=1
                                        ;     Parent Loop BB18_10 Depth=2
                                        ;       Parent Loop BB18_17 Depth=3
                                        ; =>      This Loop Header: Depth=4
                                        ;           Child Loop BB18_22 Depth 5
	s_lshl_b64 s[2:3], s[12:13], 1
	s_mov_b32 s34, 0
	v_add_co_u32 v2, s2, v18, s2
	s_delay_alu instid0(VALU_DEP_1) | instskip(NEXT) | instid1(VALU_DEP_2)
	v_add_co_ci_u32_e64 v6, s2, s3, v19, s2
	v_and_b32_e32 v5, -3, v2
	v_and_b32_e32 v2, 2, v2
	global_load_b32 v8, v[5:6], off
	v_cmp_eq_u64_e64 s2, 0, v[2:3]
	v_cmp_ne_u32_e64 s3, 0, v2
	s_set_inst_prefetch_distance 0x1
	s_branch .LBB18_22
	.p2align	6
.LBB18_21:                              ;   in Loop: Header=BB18_22 Depth=5
	s_or_b32 exec_lo, exec_lo, s4
	global_atomic_cmpswap_b32 v2, v[5:6], v[7:8], off glc
	s_waitcnt vmcnt(0)
	v_cmp_eq_u32_e64 s4, v8, v2
	v_mov_b32_e32 v8, v2
	s_delay_alu instid0(VALU_DEP_2) | instskip(NEXT) | instid1(SALU_CYCLE_1)
	s_or_b32 s34, s4, s34
	s_and_not1_b32 exec_lo, exec_lo, s34
	s_cbranch_execz .LBB18_19
.LBB18_22:                              ;   Parent Loop BB18_3 Depth=1
                                        ;     Parent Loop BB18_10 Depth=2
                                        ;       Parent Loop BB18_17 Depth=3
                                        ;         Parent Loop BB18_20 Depth=4
                                        ; =>        This Inner Loop Header: Depth=5
	s_waitcnt vmcnt(0)
	v_lshrrev_b32_e32 v2, 16, v8
	s_delay_alu instid0(VALU_DEP_1) | instskip(NEXT) | instid1(VALU_DEP_1)
	v_cndmask_b32_e64 v2, v2, v8, s2
	v_lshlrev_b32_e32 v2, 16, v2
	s_delay_alu instid0(VALU_DEP_1) | instskip(NEXT) | instid1(VALU_DEP_1)
	v_add_f32_e32 v2, v20, v2
	v_bfe_u32 v7, v2, 16, 1
	v_cmp_o_f32_e64 s4, v2, v2
	s_delay_alu instid0(VALU_DEP_2) | instskip(NEXT) | instid1(VALU_DEP_1)
	v_add3_u32 v7, v2, v7, 0x7fff
	v_lshrrev_b32_e32 v7, 16, v7
	s_delay_alu instid0(VALU_DEP_1) | instskip(SKIP_1) | instid1(SALU_CYCLE_1)
	v_cndmask_b32_e64 v2, 0x7fc0, v7, s4
	s_and_saveexec_b32 s4, s3
	s_xor_b32 s4, exec_lo, s4
; %bb.23:                               ;   in Loop: Header=BB18_22 Depth=5
	v_and_b32_e32 v7, 0xffff, v8
	s_delay_alu instid0(VALU_DEP_1)
	v_lshl_or_b32 v7, v2, 16, v7
                                        ; implicit-def: $vgpr2
; %bb.24:                               ;   in Loop: Header=BB18_22 Depth=5
	s_and_not1_saveexec_b32 s4, s4
	s_cbranch_execz .LBB18_21
; %bb.25:                               ;   in Loop: Header=BB18_22 Depth=5
	v_and_or_b32 v7, 0xffff0000, v8, v2
	s_branch .LBB18_21
.LBB18_26:
	s_endpgm
	.section	.rodata,"a",@progbits
	.p2align	6, 0x0
	.amdhsa_kernel _ZN2at6native12_GLOBAL__N_133atomic_adaptive_average_gradinputIN3c108BFloat16EEEvPT_PKS5_iiii
		.amdhsa_group_segment_fixed_size 0
		.amdhsa_private_segment_fixed_size 0
		.amdhsa_kernarg_size 288
		.amdhsa_user_sgpr_count 14
		.amdhsa_user_sgpr_dispatch_ptr 0
		.amdhsa_user_sgpr_queue_ptr 0
		.amdhsa_user_sgpr_kernarg_segment_ptr 1
		.amdhsa_user_sgpr_dispatch_id 0
		.amdhsa_user_sgpr_private_segment_size 0
		.amdhsa_wavefront_size32 1
		.amdhsa_uses_dynamic_stack 0
		.amdhsa_enable_private_segment 0
		.amdhsa_system_sgpr_workgroup_id_x 1
		.amdhsa_system_sgpr_workgroup_id_y 1
		.amdhsa_system_sgpr_workgroup_id_z 0
		.amdhsa_system_sgpr_workgroup_info 0
		.amdhsa_system_vgpr_workitem_id 1
		.amdhsa_next_free_vgpr 25
		.amdhsa_next_free_sgpr 36
		.amdhsa_reserve_vcc 1
		.amdhsa_float_round_mode_32 0
		.amdhsa_float_round_mode_16_64 0
		.amdhsa_float_denorm_mode_32 3
		.amdhsa_float_denorm_mode_16_64 3
		.amdhsa_dx10_clamp 1
		.amdhsa_ieee_mode 1
		.amdhsa_fp16_overflow 0
		.amdhsa_workgroup_processor_mode 1
		.amdhsa_memory_ordered 1
		.amdhsa_forward_progress 0
		.amdhsa_shared_vgpr_count 0
		.amdhsa_exception_fp_ieee_invalid_op 0
		.amdhsa_exception_fp_denorm_src 0
		.amdhsa_exception_fp_ieee_div_zero 0
		.amdhsa_exception_fp_ieee_overflow 0
		.amdhsa_exception_fp_ieee_underflow 0
		.amdhsa_exception_fp_ieee_inexact 0
		.amdhsa_exception_int_div_zero 0
	.end_amdhsa_kernel
	.section	.text._ZN2at6native12_GLOBAL__N_133atomic_adaptive_average_gradinputIN3c108BFloat16EEEvPT_PKS5_iiii,"axG",@progbits,_ZN2at6native12_GLOBAL__N_133atomic_adaptive_average_gradinputIN3c108BFloat16EEEvPT_PKS5_iiii,comdat
.Lfunc_end18:
	.size	_ZN2at6native12_GLOBAL__N_133atomic_adaptive_average_gradinputIN3c108BFloat16EEEvPT_PKS5_iiii, .Lfunc_end18-_ZN2at6native12_GLOBAL__N_133atomic_adaptive_average_gradinputIN3c108BFloat16EEEvPT_PKS5_iiii
                                        ; -- End function
	.section	.AMDGPU.csdata,"",@progbits
; Kernel info:
; codeLenInByte = 3756
; NumSgprs: 38
; NumVgprs: 25
; ScratchSize: 0
; MemoryBound: 0
; FloatMode: 240
; IeeeMode: 1
; LDSByteSize: 0 bytes/workgroup (compile time only)
; SGPRBlocks: 4
; VGPRBlocks: 3
; NumSGPRsForWavesPerEU: 38
; NumVGPRsForWavesPerEU: 25
; Occupancy: 16
; WaveLimiterHint : 0
; COMPUTE_PGM_RSRC2:SCRATCH_EN: 0
; COMPUTE_PGM_RSRC2:USER_SGPR: 14
; COMPUTE_PGM_RSRC2:TRAP_HANDLER: 0
; COMPUTE_PGM_RSRC2:TGID_X_EN: 1
; COMPUTE_PGM_RSRC2:TGID_Y_EN: 1
; COMPUTE_PGM_RSRC2:TGID_Z_EN: 0
; COMPUTE_PGM_RSRC2:TIDIG_COMP_CNT: 1
	.section	.text._ZN2at6native12_GLOBAL__N_126adaptive_average_gradinputIN3c108BFloat16EEEvPT_PKS5_iiii,"axG",@progbits,_ZN2at6native12_GLOBAL__N_126adaptive_average_gradinputIN3c108BFloat16EEEvPT_PKS5_iiii,comdat
	.globl	_ZN2at6native12_GLOBAL__N_126adaptive_average_gradinputIN3c108BFloat16EEEvPT_PKS5_iiii ; -- Begin function _ZN2at6native12_GLOBAL__N_126adaptive_average_gradinputIN3c108BFloat16EEEvPT_PKS5_iiii
	.p2align	8
	.type	_ZN2at6native12_GLOBAL__N_126adaptive_average_gradinputIN3c108BFloat16EEEvPT_PKS5_iiii,@function
_ZN2at6native12_GLOBAL__N_126adaptive_average_gradinputIN3c108BFloat16EEEvPT_PKS5_iiii: ; @_ZN2at6native12_GLOBAL__N_126adaptive_average_gradinputIN3c108BFloat16EEEvPT_PKS5_iiii
; %bb.0:
	s_clause 0x1
	s_load_b32 s10, s[0:1], 0x2c
	s_load_b128 s[4:7], s[0:1], 0x10
	v_bfe_u32 v3, v0, 10, 10
	s_add_u32 s8, s0, 32
	s_addc_u32 s9, s1, 0
	s_mov_b32 s2, exec_lo
	s_waitcnt lgkmcnt(0)
	s_lshr_b32 s11, s10, 16
	s_delay_alu instid0(SALU_CYCLE_1) | instskip(NEXT) | instid1(VALU_DEP_1)
	v_mad_u64_u32 v[1:2], null, s15, s11, v[3:4]
	v_cmpx_gt_i32_e64 s4, v1
	s_cbranch_execz .LBB19_28
; %bb.1:
	s_load_b128 s[0:3], s[0:1], 0x0
	s_mul_i32 s13, s14, s6
	s_load_b32 s23, s[8:9], 0x4
	s_mul_i32 s8, s13, s7
	s_mul_i32 s14, s14, s4
	s_ashr_i32 s9, s8, 31
	s_mul_i32 s18, s14, s5
	s_lshl_b64 s[8:9], s[8:9], 1
	s_mov_b32 s13, s4
	v_and_b32_e32 v13, 0x3ff, v0
	v_cvt_f32_u32_e32 v0, s13
	s_mov_b32 s12, s6
	s_mov_b32 s16, s7
	;; [unrolled: 1-line block ×4, first 2 shown]
	v_rcp_iflag_f32_e32 v0, v0
	s_waitcnt lgkmcnt(0)
	s_add_u32 s14, s2, s8
	s_addc_u32 s15, s3, s9
	s_ashr_i32 s19, s18, 31
	s_mul_i32 s23, s23, s11
	s_lshl_b64 s[2:3], s[18:19], 1
	s_delay_alu instid0(SALU_CYCLE_1)
	s_add_u32 s17, s0, s2
	s_addc_u32 s18, s1, s3
	s_abs_i32 s19, s4
	s_abs_i32 s22, s7
	v_cvt_f32_u32_e32 v2, s19
	v_cvt_f32_u32_e32 v5, s22
	s_abs_i32 s20, s5
	s_abs_i32 s21, s6
	v_cvt_f32_u32_e32 v3, s20
	v_rcp_iflag_f32_e32 v6, v2
	v_mov_b32_e32 v2, 0
	v_rcp_iflag_f32_e32 v5, v5
	v_cvt_f32_u32_e32 v4, s21
	s_sub_i32 s9, 0, s22
	v_rcp_iflag_f32_e32 v3, v3
	v_mul_f32_e32 v0, 0x4f7ffffe, v0
	s_sub_i32 s1, 0, s4
	v_rcp_iflag_f32_e32 v4, v4
	s_sub_i32 s2, 0, s19
	v_mul_f32_e32 v6, 0x4f7ffffe, v6
	s_sub_i32 s3, 0, s20
	v_mul_f32_e32 v5, 0x4f7ffffe, v5
	s_sub_i32 s8, 0, s21
	v_cmp_gt_i32_e64 s0, s5, v13
	s_waitcnt_depctr 0xfff
	v_mul_f32_e32 v3, 0x4f7ffffe, v3
	v_cvt_u32_f32_e32 v0, v0
	v_cvt_u32_f32_e32 v5, v5
	;; [unrolled: 1-line block ×3, first 2 shown]
	s_and_b32 s24, s10, 0xffff
	v_cvt_u32_f32_e32 v3, v3
	v_mul_lo_u32 v11, s1, v0
	v_mul_lo_u32 v10, s9, v5
	;; [unrolled: 1-line block ×3, first 2 shown]
	s_ashr_i32 s25, s6, 31
	v_mul_lo_u32 v8, s3, v3
	s_ashr_i32 s26, s4, 31
	s_ashr_i32 s27, s7, 31
	s_ashr_i32 s28, s5, 31
	v_mul_hi_u32 v11, v0, v11
	v_mul_hi_u32 v10, v5, v10
	v_mul_f32_e32 v4, 0x4f7ffffe, v4
	v_mul_hi_u32 v7, v6, v7
	v_mul_hi_u32 v8, v3, v8
	s_sub_i32 s31, 0, s7
	v_add_nc_u32_e32 v18, v0, v11
	v_add_nc_u32_e32 v17, v5, v10
	v_cvt_u32_f32_e32 v4, v4
	v_add_nc_u32_e32 v14, v6, v7
	v_add_nc_u32_e32 v15, v3, v8
	s_delay_alu instid0(VALU_DEP_3) | instskip(NEXT) | instid1(VALU_DEP_1)
	v_mul_lo_u32 v9, s8, v4
	v_mul_hi_u32 v9, v4, v9
	s_delay_alu instid0(VALU_DEP_1)
	v_add_nc_u32_e32 v16, v4, v9
	s_branch .LBB19_3
.LBB19_2:                               ;   in Loop: Header=BB19_3 Depth=1
	s_or_b32 exec_lo, exec_lo, s33
	v_add_nc_u32_e32 v1, s23, v1
	s_delay_alu instid0(VALU_DEP_1) | instskip(SKIP_1) | instid1(SALU_CYCLE_1)
	v_cmp_le_i32_e32 vcc_lo, s4, v1
	s_or_b32 s30, vcc_lo, s30
	s_and_not1_b32 exec_lo, exec_lo, s30
	s_cbranch_execz .LBB19_28
.LBB19_3:                               ; =>This Loop Header: Depth=1
                                        ;     Child Loop BB19_10 Depth 2
                                        ;       Child Loop BB19_17 Depth 3
                                        ;         Child Loop BB19_24 Depth 4
	v_add_nc_u32_e32 v0, 1, v1
                                        ; implicit-def: $vgpr6_vgpr7
	s_mov_b32 s1, exec_lo
	s_delay_alu instid0(VALU_DEP_1) | instskip(NEXT) | instid1(VALU_DEP_1)
	v_mad_i64_i32 v[4:5], null, v0, s12, -1
	v_or_b32_e32 v3, s26, v5
	s_delay_alu instid0(VALU_DEP_1)
	v_cmpx_ne_u64_e32 0, v[2:3]
	s_xor_b32 s10, exec_lo, s1
	s_cbranch_execnz .LBB19_6
; %bb.4:                                ;   in Loop: Header=BB19_3 Depth=1
	s_and_not1_saveexec_b32 s1, s10
	s_cbranch_execnz .LBB19_7
.LBB19_5:                               ;   in Loop: Header=BB19_3 Depth=1
	s_or_b32 exec_lo, exec_lo, s1
	s_and_saveexec_b32 s33, s0
	s_cbranch_execz .LBB19_2
	s_branch .LBB19_8
.LBB19_6:                               ;   in Loop: Header=BB19_3 Depth=1
	s_add_u32 s8, s13, s26
	s_mov_b32 s2, s26
	s_mov_b32 s3, s26
	s_addc_u32 s9, s26, s26
	s_delay_alu instid0(SALU_CYCLE_1) | instskip(NEXT) | instid1(SALU_CYCLE_1)
	s_xor_b64 s[8:9], s[8:9], s[2:3]
	v_cvt_f32_u32_e32 v0, s8
	v_cvt_f32_u32_e32 v3, s9
	s_sub_u32 s1, 0, s8
	s_subb_u32 s3, 0, s9
	s_delay_alu instid0(VALU_DEP_1) | instskip(NEXT) | instid1(VALU_DEP_1)
	v_fmac_f32_e32 v0, 0x4f800000, v3
	v_rcp_f32_e32 v0, v0
	s_waitcnt_depctr 0xfff
	v_mul_f32_e32 v0, 0x5f7ffffc, v0
	s_delay_alu instid0(VALU_DEP_1) | instskip(NEXT) | instid1(VALU_DEP_1)
	v_mul_f32_e32 v3, 0x2f800000, v0
	v_trunc_f32_e32 v3, v3
	s_delay_alu instid0(VALU_DEP_1) | instskip(SKIP_1) | instid1(VALU_DEP_2)
	v_fmac_f32_e32 v0, 0xcf800000, v3
	v_cvt_u32_f32_e32 v3, v3
	v_cvt_u32_f32_e32 v0, v0
	s_delay_alu instid0(VALU_DEP_2) | instskip(NEXT) | instid1(VALU_DEP_2)
	v_mul_lo_u32 v6, s1, v3
	v_mul_hi_u32 v7, s1, v0
	v_mul_lo_u32 v8, s3, v0
	s_delay_alu instid0(VALU_DEP_2) | instskip(SKIP_1) | instid1(VALU_DEP_2)
	v_add_nc_u32_e32 v6, v7, v6
	v_mul_lo_u32 v7, s1, v0
	v_add_nc_u32_e32 v6, v6, v8
	s_delay_alu instid0(VALU_DEP_2) | instskip(NEXT) | instid1(VALU_DEP_2)
	v_mul_hi_u32 v8, v0, v7
	v_mul_lo_u32 v9, v0, v6
	v_mul_hi_u32 v10, v0, v6
	v_mul_hi_u32 v11, v3, v7
	v_mul_lo_u32 v7, v3, v7
	v_mul_hi_u32 v12, v3, v6
	v_mul_lo_u32 v6, v3, v6
	v_add_co_u32 v8, vcc_lo, v8, v9
	v_add_co_ci_u32_e32 v9, vcc_lo, 0, v10, vcc_lo
	s_delay_alu instid0(VALU_DEP_2) | instskip(NEXT) | instid1(VALU_DEP_2)
	v_add_co_u32 v7, vcc_lo, v8, v7
	v_add_co_ci_u32_e32 v7, vcc_lo, v9, v11, vcc_lo
	v_add_co_ci_u32_e32 v8, vcc_lo, 0, v12, vcc_lo
	v_ashrrev_i32_e32 v11, 31, v5
	s_delay_alu instid0(VALU_DEP_3) | instskip(NEXT) | instid1(VALU_DEP_3)
	v_add_co_u32 v6, vcc_lo, v7, v6
	v_add_co_ci_u32_e32 v7, vcc_lo, 0, v8, vcc_lo
	s_delay_alu instid0(VALU_DEP_2) | instskip(NEXT) | instid1(VALU_DEP_2)
	v_add_co_u32 v0, vcc_lo, v0, v6
	v_add_co_ci_u32_e32 v3, vcc_lo, v3, v7, vcc_lo
	s_delay_alu instid0(VALU_DEP_2) | instskip(SKIP_1) | instid1(VALU_DEP_3)
	v_mul_hi_u32 v6, s1, v0
	v_mul_lo_u32 v8, s3, v0
	v_mul_lo_u32 v7, s1, v3
	s_delay_alu instid0(VALU_DEP_1) | instskip(SKIP_1) | instid1(VALU_DEP_2)
	v_add_nc_u32_e32 v6, v6, v7
	v_mul_lo_u32 v7, s1, v0
	v_add_nc_u32_e32 v6, v6, v8
	s_delay_alu instid0(VALU_DEP_2) | instskip(NEXT) | instid1(VALU_DEP_2)
	v_mul_hi_u32 v8, v0, v7
	v_mul_lo_u32 v9, v0, v6
	v_mul_hi_u32 v10, v0, v6
	v_mul_hi_u32 v12, v3, v7
	v_mul_lo_u32 v7, v3, v7
	v_mul_hi_u32 v19, v3, v6
	v_mul_lo_u32 v6, v3, v6
	v_add_co_u32 v8, vcc_lo, v8, v9
	v_add_co_ci_u32_e32 v9, vcc_lo, 0, v10, vcc_lo
	s_delay_alu instid0(VALU_DEP_2) | instskip(NEXT) | instid1(VALU_DEP_2)
	v_add_co_u32 v7, vcc_lo, v8, v7
	v_add_co_ci_u32_e32 v7, vcc_lo, v9, v12, vcc_lo
	v_add_co_ci_u32_e32 v8, vcc_lo, 0, v19, vcc_lo
	v_add_co_u32 v4, vcc_lo, v4, v11
	v_add_co_ci_u32_e32 v5, vcc_lo, v5, v11, vcc_lo
	s_delay_alu instid0(VALU_DEP_4) | instskip(NEXT) | instid1(VALU_DEP_4)
	v_add_co_u32 v6, vcc_lo, v7, v6
	v_add_co_ci_u32_e32 v7, vcc_lo, 0, v8, vcc_lo
	s_delay_alu instid0(VALU_DEP_4) | instskip(NEXT) | instid1(VALU_DEP_3)
	v_xor_b32_e32 v9, v4, v11
	v_add_co_u32 v0, vcc_lo, v0, v6
	s_delay_alu instid0(VALU_DEP_3) | instskip(SKIP_1) | instid1(VALU_DEP_3)
	v_add_co_ci_u32_e32 v10, vcc_lo, v3, v7, vcc_lo
	v_xor_b32_e32 v12, v5, v11
	v_mul_hi_u32 v19, v9, v0
	s_delay_alu instid0(VALU_DEP_3) | instskip(NEXT) | instid1(VALU_DEP_3)
	v_mad_u64_u32 v[3:4], null, v9, v10, 0
	v_mad_u64_u32 v[5:6], null, v12, v0, 0
	;; [unrolled: 1-line block ×3, first 2 shown]
	s_delay_alu instid0(VALU_DEP_3) | instskip(NEXT) | instid1(VALU_DEP_4)
	v_add_co_u32 v0, vcc_lo, v19, v3
	v_add_co_ci_u32_e32 v3, vcc_lo, 0, v4, vcc_lo
	s_delay_alu instid0(VALU_DEP_2) | instskip(NEXT) | instid1(VALU_DEP_2)
	v_add_co_u32 v0, vcc_lo, v0, v5
	v_add_co_ci_u32_e32 v0, vcc_lo, v3, v6, vcc_lo
	v_add_co_ci_u32_e32 v3, vcc_lo, 0, v8, vcc_lo
	s_delay_alu instid0(VALU_DEP_2) | instskip(NEXT) | instid1(VALU_DEP_2)
	v_add_co_u32 v0, vcc_lo, v0, v7
	v_add_co_ci_u32_e32 v5, vcc_lo, 0, v3, vcc_lo
	s_delay_alu instid0(VALU_DEP_2) | instskip(SKIP_1) | instid1(VALU_DEP_3)
	v_mul_lo_u32 v6, s9, v0
	v_mad_u64_u32 v[3:4], null, s8, v0, 0
	v_mul_lo_u32 v5, s8, v5
	s_delay_alu instid0(VALU_DEP_2) | instskip(NEXT) | instid1(VALU_DEP_2)
	v_sub_co_u32 v3, vcc_lo, v9, v3
	v_add3_u32 v4, v4, v5, v6
	v_add_co_u32 v6, s1, v0, 2
	s_delay_alu instid0(VALU_DEP_2) | instskip(NEXT) | instid1(VALU_DEP_1)
	v_sub_nc_u32_e32 v5, v12, v4
	v_subrev_co_ci_u32_e64 v5, s1, s9, v5, vcc_lo
	v_sub_co_u32 v7, s1, v3, s8
	v_sub_co_ci_u32_e32 v4, vcc_lo, v12, v4, vcc_lo
	s_delay_alu instid0(VALU_DEP_3) | instskip(NEXT) | instid1(VALU_DEP_3)
	v_subrev_co_ci_u32_e64 v5, s1, 0, v5, s1
	v_cmp_le_u32_e32 vcc_lo, s8, v7
	v_cndmask_b32_e64 v7, 0, -1, vcc_lo
	s_delay_alu instid0(VALU_DEP_3)
	v_cmp_le_u32_e32 vcc_lo, s9, v5
	v_cndmask_b32_e64 v8, 0, -1, vcc_lo
	v_cmp_le_u32_e32 vcc_lo, s8, v3
	v_cndmask_b32_e64 v3, 0, -1, vcc_lo
	;; [unrolled: 2-line block ×3, first 2 shown]
	v_cmp_eq_u32_e32 vcc_lo, s9, v5
	v_cndmask_b32_e32 v5, v8, v7, vcc_lo
	v_add_co_u32 v7, vcc_lo, v0, 1
	v_cmp_eq_u32_e32 vcc_lo, s9, v4
	v_cndmask_b32_e32 v3, v9, v3, vcc_lo
	s_delay_alu instid0(VALU_DEP_4) | instskip(NEXT) | instid1(VALU_DEP_4)
	v_cmp_ne_u32_e32 vcc_lo, 0, v5
	v_cndmask_b32_e32 v4, v7, v6, vcc_lo
	s_delay_alu instid0(VALU_DEP_3) | instskip(SKIP_1) | instid1(VALU_DEP_3)
	v_cmp_ne_u32_e32 vcc_lo, 0, v3
	v_xor_b32_e32 v3, s2, v11
	v_cndmask_b32_e32 v0, v0, v4, vcc_lo
                                        ; implicit-def: $vgpr4_vgpr5
	s_delay_alu instid0(VALU_DEP_1) | instskip(NEXT) | instid1(VALU_DEP_1)
	v_xor_b32_e32 v0, v0, v3
	v_sub_co_u32 v6, vcc_lo, v0, v3
	s_and_not1_saveexec_b32 s1, s10
	s_cbranch_execz .LBB19_5
.LBB19_7:                               ;   in Loop: Header=BB19_3 Depth=1
	s_delay_alu instid0(VALU_DEP_3) | instskip(NEXT) | instid1(VALU_DEP_1)
	v_mul_hi_u32 v0, v4, v18
	v_mul_lo_u32 v3, v0, s13
	s_delay_alu instid0(VALU_DEP_1) | instskip(NEXT) | instid1(VALU_DEP_1)
	v_sub_nc_u32_e32 v3, v4, v3
	v_subrev_nc_u32_e32 v5, s13, v3
	v_cmp_le_u32_e32 vcc_lo, s13, v3
	s_delay_alu instid0(VALU_DEP_2) | instskip(NEXT) | instid1(VALU_DEP_1)
	v_dual_cndmask_b32 v3, v3, v5 :: v_dual_add_nc_u32 v4, 1, v0
	v_cndmask_b32_e32 v0, v0, v4, vcc_lo
	s_delay_alu instid0(VALU_DEP_2) | instskip(NEXT) | instid1(VALU_DEP_2)
	v_cmp_le_u32_e32 vcc_lo, s13, v3
	v_add_nc_u32_e32 v4, 1, v0
	s_delay_alu instid0(VALU_DEP_1)
	v_cndmask_b32_e32 v6, v0, v4, vcc_lo
	s_or_b32 exec_lo, exec_lo, s1
	s_and_saveexec_b32 s33, s0
	s_cbranch_execz .LBB19_2
.LBB19_8:                               ;   in Loop: Header=BB19_3 Depth=1
	v_sub_nc_u32_e32 v0, 0, v1
	s_mov_b32 s34, 0
	v_add_nc_u32_e32 v19, 1, v6
	s_delay_alu instid0(VALU_DEP_2) | instskip(NEXT) | instid1(VALU_DEP_1)
	v_max_i32_e32 v0, v1, v0
	v_mul_hi_u32 v3, v0, v14
	s_delay_alu instid0(VALU_DEP_1) | instskip(NEXT) | instid1(VALU_DEP_1)
	v_mul_lo_u32 v4, v3, s19
	v_sub_nc_u32_e32 v0, v0, v4
	v_add_nc_u32_e32 v4, 1, v3
	s_delay_alu instid0(VALU_DEP_2) | instskip(SKIP_1) | instid1(VALU_DEP_2)
	v_subrev_nc_u32_e32 v5, s19, v0
	v_cmp_le_u32_e32 vcc_lo, s19, v0
	v_dual_cndmask_b32 v3, v3, v4 :: v_dual_cndmask_b32 v0, v0, v5
	v_ashrrev_i32_e32 v4, 31, v1
	s_delay_alu instid0(VALU_DEP_2) | instskip(NEXT) | instid1(VALU_DEP_3)
	v_add_nc_u32_e32 v5, 1, v3
	v_cmp_le_u32_e32 vcc_lo, s19, v0
	s_delay_alu instid0(VALU_DEP_3) | instskip(NEXT) | instid1(VALU_DEP_3)
	v_xor_b32_e32 v4, s26, v4
	v_cndmask_b32_e32 v0, v3, v5, vcc_lo
	s_delay_alu instid0(VALU_DEP_1) | instskip(NEXT) | instid1(VALU_DEP_1)
	v_xor_b32_e32 v0, v0, v4
	v_sub_nc_u32_e32 v3, v0, v4
	s_delay_alu instid0(VALU_DEP_1) | instskip(NEXT) | instid1(VALU_DEP_1)
	v_mul_lo_u32 v0, v3, s4
	v_sub_nc_u32_e32 v0, v1, v0
	s_delay_alu instid0(VALU_DEP_1) | instskip(NEXT) | instid1(VALU_DEP_1)
	v_mul_lo_u32 v0, v0, s6
	v_sub_nc_u32_e32 v4, 0, v0
	s_delay_alu instid0(VALU_DEP_1) | instskip(SKIP_1) | instid1(VALU_DEP_2)
	v_max_i32_e32 v4, v0, v4
	v_ashrrev_i32_e32 v0, 31, v0
	v_mul_hi_u32 v5, v4, v14
	s_delay_alu instid0(VALU_DEP_2) | instskip(NEXT) | instid1(VALU_DEP_2)
	v_xor_b32_e32 v0, s26, v0
	v_mul_lo_u32 v7, v5, s19
	s_delay_alu instid0(VALU_DEP_1) | instskip(SKIP_1) | instid1(VALU_DEP_2)
	v_sub_nc_u32_e32 v4, v4, v7
	v_add_nc_u32_e32 v7, 1, v5
	v_subrev_nc_u32_e32 v8, s19, v4
	v_cmp_le_u32_e32 vcc_lo, s19, v4
	s_delay_alu instid0(VALU_DEP_2) | instskip(NEXT) | instid1(VALU_DEP_1)
	v_dual_cndmask_b32 v5, v5, v7 :: v_dual_cndmask_b32 v4, v4, v8
	v_add_nc_u32_e32 v7, 1, v5
	s_delay_alu instid0(VALU_DEP_2) | instskip(NEXT) | instid1(VALU_DEP_2)
	v_cmp_le_u32_e32 vcc_lo, s19, v4
	v_cndmask_b32_e32 v4, v5, v7, vcc_lo
	v_mul_lo_u32 v7, v1, s5
	s_delay_alu instid0(VALU_DEP_2) | instskip(NEXT) | instid1(VALU_DEP_2)
	v_xor_b32_e32 v4, v4, v0
	v_ashrrev_i32_e32 v8, 31, v7
	s_delay_alu instid0(VALU_DEP_2) | instskip(NEXT) | instid1(VALU_DEP_2)
	v_sub_nc_u32_e32 v0, v4, v0
	v_lshlrev_b64 v[7:8], 1, v[7:8]
	s_delay_alu instid0(VALU_DEP_2) | instskip(SKIP_1) | instid1(VALU_DEP_3)
	v_mad_u64_u32 v[4:5], null, v3, s6, v[0:1]
	v_mov_b32_e32 v5, v13
	v_add_co_u32 v21, vcc_lo, s17, v7
	s_delay_alu instid0(VALU_DEP_4) | instskip(NEXT) | instid1(VALU_DEP_4)
	v_add_co_ci_u32_e32 v22, vcc_lo, s18, v8, vcc_lo
	v_mul_lo_u32 v20, s7, v4
	v_cmp_lt_i32_e64 s1, v4, v19
	s_branch .LBB19_10
.LBB19_9:                               ;   in Loop: Header=BB19_10 Depth=2
	s_or_b32 exec_lo, exec_lo, s35
	v_add_nc_u32_e32 v5, s24, v5
	s_delay_alu instid0(VALU_DEP_1) | instskip(SKIP_1) | instid1(SALU_CYCLE_1)
	v_cmp_le_i32_e32 vcc_lo, s5, v5
	s_or_b32 s34, vcc_lo, s34
	s_and_not1_b32 exec_lo, exec_lo, s34
	s_cbranch_execz .LBB19_2
.LBB19_10:                              ;   Parent Loop BB19_3 Depth=1
                                        ; =>  This Loop Header: Depth=2
                                        ;       Child Loop BB19_17 Depth 3
                                        ;         Child Loop BB19_24 Depth 4
	v_add_nc_u32_e32 v3, 1, v5
	s_mov_b32 s2, exec_lo
	s_delay_alu instid0(VALU_DEP_1) | instskip(NEXT) | instid1(VALU_DEP_1)
	v_mad_u64_u32 v[6:7], null, v3, s16, -1
	v_mov_b32_e32 v0, v7
	s_delay_alu instid0(VALU_DEP_1) | instskip(NEXT) | instid1(VALU_DEP_1)
	v_mad_u64_u32 v[7:8], null, v3, s27, v[0:1]
                                        ; implicit-def: $vgpr8_vgpr9
	v_mov_b32_e32 v0, v7
	s_delay_alu instid0(VALU_DEP_1) | instskip(NEXT) | instid1(VALU_DEP_1)
	v_or_b32_e32 v3, s28, v0
	v_cmpx_ne_u64_e32 0, v[2:3]
	s_xor_b32 s3, exec_lo, s2
	s_cbranch_execnz .LBB19_13
; %bb.11:                               ;   in Loop: Header=BB19_10 Depth=2
	s_and_not1_saveexec_b32 s2, s3
	s_cbranch_execnz .LBB19_14
.LBB19_12:                              ;   in Loop: Header=BB19_10 Depth=2
	s_or_b32 exec_lo, exec_lo, s2
	v_mov_b32_e32 v6, v2
	s_and_saveexec_b32 s35, s1
	s_cbranch_execz .LBB19_9
	s_branch .LBB19_15
.LBB19_13:                              ;   in Loop: Header=BB19_10 Depth=2
	s_add_u32 s10, s29, s28
	s_mov_b32 s8, s28
	s_mov_b32 s9, s28
	s_addc_u32 s11, s28, s28
	s_delay_alu instid0(SALU_CYCLE_1) | instskip(NEXT) | instid1(SALU_CYCLE_1)
	s_xor_b64 s[10:11], s[10:11], s[8:9]
	v_cvt_f32_u32_e32 v3, s10
	v_cvt_f32_u32_e32 v7, s11
	s_sub_u32 s2, 0, s10
	s_subb_u32 s9, 0, s11
	s_delay_alu instid0(VALU_DEP_1) | instskip(NEXT) | instid1(VALU_DEP_1)
	v_fmac_f32_e32 v3, 0x4f800000, v7
	v_rcp_f32_e32 v3, v3
	s_waitcnt_depctr 0xfff
	v_mul_f32_e32 v3, 0x5f7ffffc, v3
	s_delay_alu instid0(VALU_DEP_1) | instskip(NEXT) | instid1(VALU_DEP_1)
	v_mul_f32_e32 v7, 0x2f800000, v3
	v_trunc_f32_e32 v7, v7
	s_delay_alu instid0(VALU_DEP_1) | instskip(SKIP_1) | instid1(VALU_DEP_2)
	v_fmac_f32_e32 v3, 0xcf800000, v7
	v_cvt_u32_f32_e32 v7, v7
	v_cvt_u32_f32_e32 v3, v3
	s_delay_alu instid0(VALU_DEP_2) | instskip(NEXT) | instid1(VALU_DEP_2)
	v_mul_lo_u32 v8, s2, v7
	v_mul_hi_u32 v9, s2, v3
	v_mul_lo_u32 v10, s9, v3
	s_delay_alu instid0(VALU_DEP_2) | instskip(SKIP_1) | instid1(VALU_DEP_2)
	v_add_nc_u32_e32 v8, v9, v8
	v_mul_lo_u32 v9, s2, v3
	v_add_nc_u32_e32 v8, v8, v10
	s_delay_alu instid0(VALU_DEP_2) | instskip(NEXT) | instid1(VALU_DEP_2)
	v_mul_hi_u32 v10, v3, v9
	v_mul_lo_u32 v11, v3, v8
	v_mul_hi_u32 v12, v3, v8
	v_mul_hi_u32 v23, v7, v9
	v_mul_lo_u32 v9, v7, v9
	v_mul_hi_u32 v24, v7, v8
	v_mul_lo_u32 v8, v7, v8
	v_add_co_u32 v10, vcc_lo, v10, v11
	v_add_co_ci_u32_e32 v11, vcc_lo, 0, v12, vcc_lo
	s_delay_alu instid0(VALU_DEP_2) | instskip(NEXT) | instid1(VALU_DEP_2)
	v_add_co_u32 v9, vcc_lo, v10, v9
	v_add_co_ci_u32_e32 v9, vcc_lo, v11, v23, vcc_lo
	v_add_co_ci_u32_e32 v10, vcc_lo, 0, v24, vcc_lo
	v_ashrrev_i32_e32 v23, 31, v0
	s_delay_alu instid0(VALU_DEP_3) | instskip(NEXT) | instid1(VALU_DEP_3)
	v_add_co_u32 v8, vcc_lo, v9, v8
	v_add_co_ci_u32_e32 v9, vcc_lo, 0, v10, vcc_lo
	s_delay_alu instid0(VALU_DEP_2) | instskip(NEXT) | instid1(VALU_DEP_2)
	v_add_co_u32 v3, vcc_lo, v3, v8
	v_add_co_ci_u32_e32 v7, vcc_lo, v7, v9, vcc_lo
	s_delay_alu instid0(VALU_DEP_2) | instskip(SKIP_1) | instid1(VALU_DEP_3)
	v_mul_hi_u32 v8, s2, v3
	v_mul_lo_u32 v10, s9, v3
	v_mul_lo_u32 v9, s2, v7
	s_delay_alu instid0(VALU_DEP_1) | instskip(SKIP_1) | instid1(VALU_DEP_2)
	v_add_nc_u32_e32 v8, v8, v9
	v_mul_lo_u32 v9, s2, v3
	v_add_nc_u32_e32 v8, v8, v10
	s_delay_alu instid0(VALU_DEP_2) | instskip(NEXT) | instid1(VALU_DEP_2)
	v_mul_hi_u32 v10, v3, v9
	v_mul_lo_u32 v11, v3, v8
	v_mul_hi_u32 v12, v3, v8
	v_mul_hi_u32 v24, v7, v9
	v_mul_lo_u32 v9, v7, v9
	v_mul_hi_u32 v25, v7, v8
	v_mul_lo_u32 v8, v7, v8
	v_add_co_u32 v10, vcc_lo, v10, v11
	v_add_co_ci_u32_e32 v11, vcc_lo, 0, v12, vcc_lo
	s_delay_alu instid0(VALU_DEP_2) | instskip(NEXT) | instid1(VALU_DEP_2)
	v_add_co_u32 v9, vcc_lo, v10, v9
	v_add_co_ci_u32_e32 v9, vcc_lo, v11, v24, vcc_lo
	v_add_co_ci_u32_e32 v10, vcc_lo, 0, v25, vcc_lo
	v_add_co_u32 v6, vcc_lo, v6, v23
	v_add_co_ci_u32_e32 v0, vcc_lo, v0, v23, vcc_lo
	s_delay_alu instid0(VALU_DEP_4) | instskip(NEXT) | instid1(VALU_DEP_4)
	v_add_co_u32 v8, vcc_lo, v9, v8
	v_add_co_ci_u32_e32 v9, vcc_lo, 0, v10, vcc_lo
	s_delay_alu instid0(VALU_DEP_4) | instskip(NEXT) | instid1(VALU_DEP_3)
	v_xor_b32_e32 v12, v6, v23
	v_add_co_u32 v3, vcc_lo, v3, v8
	s_delay_alu instid0(VALU_DEP_3) | instskip(SKIP_1) | instid1(VALU_DEP_3)
	v_add_co_ci_u32_e32 v24, vcc_lo, v7, v9, vcc_lo
	v_xor_b32_e32 v0, v0, v23
	v_mul_hi_u32 v25, v12, v3
	s_delay_alu instid0(VALU_DEP_3) | instskip(NEXT) | instid1(VALU_DEP_3)
	v_mad_u64_u32 v[6:7], null, v12, v24, 0
	v_mad_u64_u32 v[8:9], null, v0, v3, 0
	;; [unrolled: 1-line block ×3, first 2 shown]
	s_delay_alu instid0(VALU_DEP_3) | instskip(NEXT) | instid1(VALU_DEP_4)
	v_add_co_u32 v3, vcc_lo, v25, v6
	v_add_co_ci_u32_e32 v6, vcc_lo, 0, v7, vcc_lo
	s_delay_alu instid0(VALU_DEP_2) | instskip(NEXT) | instid1(VALU_DEP_2)
	v_add_co_u32 v3, vcc_lo, v3, v8
	v_add_co_ci_u32_e32 v3, vcc_lo, v6, v9, vcc_lo
	v_add_co_ci_u32_e32 v6, vcc_lo, 0, v11, vcc_lo
	s_delay_alu instid0(VALU_DEP_2) | instskip(NEXT) | instid1(VALU_DEP_2)
	v_add_co_u32 v3, vcc_lo, v3, v10
	v_add_co_ci_u32_e32 v8, vcc_lo, 0, v6, vcc_lo
	s_delay_alu instid0(VALU_DEP_2) | instskip(SKIP_1) | instid1(VALU_DEP_3)
	v_mul_lo_u32 v9, s11, v3
	v_mad_u64_u32 v[6:7], null, s10, v3, 0
	v_mul_lo_u32 v8, s10, v8
	s_delay_alu instid0(VALU_DEP_2) | instskip(NEXT) | instid1(VALU_DEP_2)
	v_sub_co_u32 v6, vcc_lo, v12, v6
	v_add3_u32 v7, v7, v8, v9
	v_add_co_u32 v9, s2, v3, 2
	s_delay_alu instid0(VALU_DEP_2) | instskip(NEXT) | instid1(VALU_DEP_1)
	v_sub_nc_u32_e32 v8, v0, v7
	v_subrev_co_ci_u32_e64 v8, s2, s11, v8, vcc_lo
	v_sub_co_u32 v10, s2, v6, s10
	v_sub_co_ci_u32_e32 v0, vcc_lo, v0, v7, vcc_lo
	s_delay_alu instid0(VALU_DEP_3) | instskip(NEXT) | instid1(VALU_DEP_3)
	v_subrev_co_ci_u32_e64 v8, s2, 0, v8, s2
	v_cmp_le_u32_e32 vcc_lo, s10, v10
	v_cndmask_b32_e64 v7, 0, -1, vcc_lo
	s_delay_alu instid0(VALU_DEP_3)
	v_cmp_le_u32_e32 vcc_lo, s11, v8
	v_cndmask_b32_e64 v10, 0, -1, vcc_lo
	v_cmp_le_u32_e32 vcc_lo, s10, v6
	v_cndmask_b32_e64 v6, 0, -1, vcc_lo
	;; [unrolled: 2-line block ×3, first 2 shown]
	v_cmp_eq_u32_e32 vcc_lo, s11, v8
	v_cndmask_b32_e32 v7, v10, v7, vcc_lo
	v_add_co_u32 v8, vcc_lo, v3, 1
	v_cmp_eq_u32_e32 vcc_lo, s11, v0
	v_cndmask_b32_e32 v0, v11, v6, vcc_lo
	s_delay_alu instid0(VALU_DEP_4) | instskip(NEXT) | instid1(VALU_DEP_4)
	v_cmp_ne_u32_e32 vcc_lo, 0, v7
	v_cndmask_b32_e32 v6, v8, v9, vcc_lo
	s_delay_alu instid0(VALU_DEP_3) | instskip(NEXT) | instid1(VALU_DEP_2)
	v_cmp_ne_u32_e32 vcc_lo, 0, v0
	v_cndmask_b32_e32 v0, v3, v6, vcc_lo
	v_xor_b32_e32 v3, s8, v23
                                        ; implicit-def: $vgpr6_vgpr7
	s_delay_alu instid0(VALU_DEP_1) | instskip(NEXT) | instid1(VALU_DEP_1)
	v_xor_b32_e32 v0, v0, v3
	v_sub_co_u32 v8, vcc_lo, v0, v3
	s_and_not1_saveexec_b32 s2, s3
	s_cbranch_execz .LBB19_12
.LBB19_14:                              ;   in Loop: Header=BB19_10 Depth=2
	v_cvt_f32_u32_e32 v0, s29
	s_sub_i32 s3, 0, s29
	s_delay_alu instid0(VALU_DEP_1) | instskip(SKIP_2) | instid1(VALU_DEP_1)
	v_rcp_iflag_f32_e32 v0, v0
	s_waitcnt_depctr 0xfff
	v_mul_f32_e32 v0, 0x4f7ffffe, v0
	v_cvt_u32_f32_e32 v0, v0
	s_delay_alu instid0(VALU_DEP_1) | instskip(NEXT) | instid1(VALU_DEP_1)
	v_mul_lo_u32 v3, s3, v0
	v_mul_hi_u32 v3, v0, v3
	s_delay_alu instid0(VALU_DEP_1) | instskip(NEXT) | instid1(VALU_DEP_1)
	v_add_nc_u32_e32 v0, v0, v3
	v_mul_hi_u32 v0, v6, v0
	s_delay_alu instid0(VALU_DEP_1) | instskip(NEXT) | instid1(VALU_DEP_1)
	v_mul_lo_u32 v3, v0, s29
	v_sub_nc_u32_e32 v3, v6, v3
	v_add_nc_u32_e32 v6, 1, v0
	s_delay_alu instid0(VALU_DEP_2) | instskip(SKIP_1) | instid1(VALU_DEP_2)
	v_subrev_nc_u32_e32 v7, s29, v3
	v_cmp_le_u32_e32 vcc_lo, s29, v3
	v_dual_cndmask_b32 v3, v3, v7 :: v_dual_cndmask_b32 v0, v0, v6
	s_delay_alu instid0(VALU_DEP_1) | instskip(NEXT) | instid1(VALU_DEP_2)
	v_cmp_le_u32_e32 vcc_lo, s29, v3
	v_add_nc_u32_e32 v6, 1, v0
	s_delay_alu instid0(VALU_DEP_1)
	v_cndmask_b32_e32 v8, v0, v6, vcc_lo
	s_or_b32 exec_lo, exec_lo, s2
	v_mov_b32_e32 v6, v2
	s_and_saveexec_b32 s35, s1
	s_cbranch_execz .LBB19_9
.LBB19_15:                              ;   in Loop: Header=BB19_10 Depth=2
	v_mul_lo_u32 v0, v5, s7
	v_mul_hi_u32 v7, v5, v15
	s_mov_b32 s36, 0
	v_mov_b32_e32 v24, v20
	s_delay_alu instid0(VALU_DEP_3) | instskip(NEXT) | instid1(VALU_DEP_3)
	v_sub_nc_u32_e32 v3, 0, v0
	v_mul_lo_u32 v10, v7, s20
	v_add_nc_u32_e32 v12, 1, v7
	s_delay_alu instid0(VALU_DEP_3) | instskip(SKIP_1) | instid1(VALU_DEP_4)
	v_max_i32_e32 v3, v0, v3
	v_ashrrev_i32_e32 v0, 31, v0
	v_sub_nc_u32_e32 v10, v5, v10
	s_delay_alu instid0(VALU_DEP_3) | instskip(NEXT) | instid1(VALU_DEP_3)
	v_mul_hi_u32 v9, v3, v15
	v_xor_b32_e32 v0, s28, v0
	s_delay_alu instid0(VALU_DEP_3) | instskip(NEXT) | instid1(VALU_DEP_3)
	v_cmp_le_u32_e32 vcc_lo, s20, v10
	v_mul_lo_u32 v11, v9, s20
	v_cndmask_b32_e32 v7, v7, v12, vcc_lo
	v_subrev_nc_u32_e32 v12, s20, v10
	s_delay_alu instid0(VALU_DEP_1) | instskip(NEXT) | instid1(VALU_DEP_4)
	v_cndmask_b32_e32 v10, v10, v12, vcc_lo
	v_sub_nc_u32_e32 v3, v3, v11
	v_add_nc_u32_e32 v11, 1, v9
	s_delay_alu instid0(VALU_DEP_3) | instskip(NEXT) | instid1(VALU_DEP_3)
	v_cmp_le_u32_e32 vcc_lo, s20, v10
	v_cmp_le_u32_e64 s2, s20, v3
	v_subrev_nc_u32_e32 v23, s20, v3
	s_delay_alu instid0(VALU_DEP_2) | instskip(NEXT) | instid1(VALU_DEP_2)
	v_cndmask_b32_e64 v9, v9, v11, s2
	v_cndmask_b32_e64 v3, v3, v23, s2
	v_add_nc_u32_e32 v23, 1, v8
	s_delay_alu instid0(VALU_DEP_3) | instskip(SKIP_1) | instid1(VALU_DEP_1)
	v_add_nc_u32_e32 v12, 1, v9
	v_add_nc_u32_e32 v11, 1, v7
	v_cndmask_b32_e32 v7, v7, v11, vcc_lo
	v_cmp_le_u32_e32 vcc_lo, s20, v3
	s_delay_alu instid0(VALU_DEP_2) | instskip(SKIP_2) | instid1(VALU_DEP_3)
	v_xor_b32_e32 v7, s28, v7
	v_cndmask_b32_e32 v3, v9, v12, vcc_lo
	v_lshlrev_b64 v[9:10], 1, v[5:6]
	v_subrev_nc_u32_e32 v11, s28, v7
	s_delay_alu instid0(VALU_DEP_3) | instskip(NEXT) | instid1(VALU_DEP_1)
	v_xor_b32_e32 v3, v3, v0
	v_sub_nc_u32_e32 v0, v3, v0
	s_delay_alu instid0(VALU_DEP_1) | instskip(SKIP_3) | instid1(VALU_DEP_4)
	v_mad_u64_u32 v[6:7], null, v11, s7, v[0:1]
	v_mov_b32_e32 v0, v4
	v_add_co_u32 v7, vcc_lo, v21, v9
	v_add_co_ci_u32_e32 v8, vcc_lo, v22, v10, vcc_lo
	v_cmp_lt_i32_e64 s2, v6, v23
	s_branch .LBB19_17
.LBB19_16:                              ;   in Loop: Header=BB19_17 Depth=3
	s_or_b32 exec_lo, exec_lo, s37
	s_delay_alu instid0(VALU_DEP_1) | instskip(SKIP_3) | instid1(SALU_CYCLE_1)
	v_cmp_ge_i32_e32 vcc_lo, v25, v19
	v_add_nc_u32_e32 v24, s7, v24
	v_mov_b32_e32 v0, v25
	s_or_b32 s36, vcc_lo, s36
	s_and_not1_b32 exec_lo, exec_lo, s36
	s_cbranch_execz .LBB19_9
.LBB19_17:                              ;   Parent Loop BB19_3 Depth=1
                                        ;     Parent Loop BB19_10 Depth=2
                                        ; =>    This Loop Header: Depth=3
                                        ;         Child Loop BB19_24 Depth 4
	s_delay_alu instid0(VALU_DEP_1) | instskip(NEXT) | instid1(VALU_DEP_2)
	v_add_nc_u32_e32 v25, 1, v0
	s_and_saveexec_b32 s37, s2
	s_cbranch_execz .LBB19_16
; %bb.18:                               ;   in Loop: Header=BB19_17 Depth=3
	s_delay_alu instid0(VALU_DEP_1) | instskip(SKIP_1) | instid1(VALU_DEP_1)
	v_mad_i64_i32 v[9:10], null, v25, s13, -1
                                        ; implicit-def: $vgpr11_vgpr12
	s_mov_b32 s3, exec_lo
	v_or_b32_e32 v3, s25, v10
	s_delay_alu instid0(VALU_DEP_1)
	v_cmpx_ne_u64_e32 0, v[2:3]
	s_xor_b32 s38, exec_lo, s3
	s_cbranch_execz .LBB19_20
; %bb.19:                               ;   in Loop: Header=BB19_17 Depth=3
	s_add_u32 s10, s12, s25
	s_mov_b32 s8, s25
	s_mov_b32 s9, s25
	s_addc_u32 s11, s25, s25
	s_delay_alu instid0(SALU_CYCLE_1) | instskip(NEXT) | instid1(SALU_CYCLE_1)
	s_xor_b64 s[10:11], s[10:11], s[8:9]
	v_cvt_f32_u32_e32 v3, s10
	v_cvt_f32_u32_e32 v11, s11
	s_sub_u32 s3, 0, s10
	s_subb_u32 s9, 0, s11
	s_delay_alu instid0(VALU_DEP_1) | instskip(NEXT) | instid1(VALU_DEP_1)
	v_fmac_f32_e32 v3, 0x4f800000, v11
	v_rcp_f32_e32 v3, v3
	s_waitcnt_depctr 0xfff
	v_mul_f32_e32 v3, 0x5f7ffffc, v3
	s_delay_alu instid0(VALU_DEP_1) | instskip(NEXT) | instid1(VALU_DEP_1)
	v_mul_f32_e32 v11, 0x2f800000, v3
	v_trunc_f32_e32 v11, v11
	s_delay_alu instid0(VALU_DEP_1) | instskip(SKIP_1) | instid1(VALU_DEP_2)
	v_fmac_f32_e32 v3, 0xcf800000, v11
	v_cvt_u32_f32_e32 v11, v11
	v_cvt_u32_f32_e32 v3, v3
	s_delay_alu instid0(VALU_DEP_2) | instskip(NEXT) | instid1(VALU_DEP_2)
	v_mul_lo_u32 v12, s3, v11
	v_mul_hi_u32 v26, s3, v3
	v_mul_lo_u32 v27, s9, v3
	s_delay_alu instid0(VALU_DEP_2) | instskip(SKIP_1) | instid1(VALU_DEP_2)
	v_add_nc_u32_e32 v12, v26, v12
	v_mul_lo_u32 v26, s3, v3
	v_add_nc_u32_e32 v12, v12, v27
	s_delay_alu instid0(VALU_DEP_2) | instskip(NEXT) | instid1(VALU_DEP_2)
	v_mul_hi_u32 v27, v3, v26
	v_mul_lo_u32 v28, v3, v12
	v_mul_hi_u32 v29, v3, v12
	v_mul_hi_u32 v30, v11, v26
	v_mul_lo_u32 v26, v11, v26
	v_mul_hi_u32 v31, v11, v12
	v_mul_lo_u32 v12, v11, v12
	v_add_co_u32 v27, vcc_lo, v27, v28
	v_add_co_ci_u32_e32 v28, vcc_lo, 0, v29, vcc_lo
	s_delay_alu instid0(VALU_DEP_2) | instskip(NEXT) | instid1(VALU_DEP_2)
	v_add_co_u32 v26, vcc_lo, v27, v26
	v_add_co_ci_u32_e32 v26, vcc_lo, v28, v30, vcc_lo
	v_add_co_ci_u32_e32 v27, vcc_lo, 0, v31, vcc_lo
	v_ashrrev_i32_e32 v30, 31, v10
	s_delay_alu instid0(VALU_DEP_3) | instskip(NEXT) | instid1(VALU_DEP_3)
	v_add_co_u32 v12, vcc_lo, v26, v12
	v_add_co_ci_u32_e32 v26, vcc_lo, 0, v27, vcc_lo
	s_delay_alu instid0(VALU_DEP_2) | instskip(NEXT) | instid1(VALU_DEP_2)
	v_add_co_u32 v3, vcc_lo, v3, v12
	v_add_co_ci_u32_e32 v11, vcc_lo, v11, v26, vcc_lo
	s_delay_alu instid0(VALU_DEP_2) | instskip(SKIP_1) | instid1(VALU_DEP_3)
	v_mul_hi_u32 v12, s3, v3
	v_mul_lo_u32 v27, s9, v3
	v_mul_lo_u32 v26, s3, v11
	s_delay_alu instid0(VALU_DEP_1) | instskip(SKIP_1) | instid1(VALU_DEP_2)
	v_add_nc_u32_e32 v12, v12, v26
	v_mul_lo_u32 v26, s3, v3
	v_add_nc_u32_e32 v12, v12, v27
	s_delay_alu instid0(VALU_DEP_2) | instskip(NEXT) | instid1(VALU_DEP_2)
	v_mul_hi_u32 v27, v3, v26
	v_mul_lo_u32 v28, v3, v12
	v_mul_hi_u32 v29, v3, v12
	v_mul_hi_u32 v31, v11, v26
	v_mul_lo_u32 v26, v11, v26
	v_mul_hi_u32 v32, v11, v12
	v_mul_lo_u32 v12, v11, v12
	v_add_co_u32 v27, vcc_lo, v27, v28
	v_add_co_ci_u32_e32 v28, vcc_lo, 0, v29, vcc_lo
	s_delay_alu instid0(VALU_DEP_2) | instskip(NEXT) | instid1(VALU_DEP_2)
	v_add_co_u32 v26, vcc_lo, v27, v26
	v_add_co_ci_u32_e32 v26, vcc_lo, v28, v31, vcc_lo
	v_add_co_ci_u32_e32 v27, vcc_lo, 0, v32, vcc_lo
	v_add_co_u32 v9, vcc_lo, v9, v30
	v_add_co_ci_u32_e32 v10, vcc_lo, v10, v30, vcc_lo
	s_delay_alu instid0(VALU_DEP_4) | instskip(NEXT) | instid1(VALU_DEP_4)
	v_add_co_u32 v12, vcc_lo, v26, v12
	v_add_co_ci_u32_e32 v26, vcc_lo, 0, v27, vcc_lo
	s_delay_alu instid0(VALU_DEP_4) | instskip(NEXT) | instid1(VALU_DEP_3)
	v_xor_b32_e32 v28, v9, v30
	v_add_co_u32 v3, vcc_lo, v3, v12
	s_delay_alu instid0(VALU_DEP_3) | instskip(SKIP_1) | instid1(VALU_DEP_3)
	v_add_co_ci_u32_e32 v29, vcc_lo, v11, v26, vcc_lo
	v_xor_b32_e32 v31, v10, v30
	v_mul_hi_u32 v32, v28, v3
	s_delay_alu instid0(VALU_DEP_3) | instskip(NEXT) | instid1(VALU_DEP_3)
	v_mad_u64_u32 v[9:10], null, v28, v29, 0
	v_mad_u64_u32 v[11:12], null, v31, v3, 0
	;; [unrolled: 1-line block ×3, first 2 shown]
	s_delay_alu instid0(VALU_DEP_3) | instskip(NEXT) | instid1(VALU_DEP_4)
	v_add_co_u32 v3, vcc_lo, v32, v9
	v_add_co_ci_u32_e32 v9, vcc_lo, 0, v10, vcc_lo
	s_delay_alu instid0(VALU_DEP_2) | instskip(NEXT) | instid1(VALU_DEP_2)
	v_add_co_u32 v3, vcc_lo, v3, v11
	v_add_co_ci_u32_e32 v3, vcc_lo, v9, v12, vcc_lo
	v_add_co_ci_u32_e32 v9, vcc_lo, 0, v27, vcc_lo
	s_delay_alu instid0(VALU_DEP_2) | instskip(NEXT) | instid1(VALU_DEP_2)
	v_add_co_u32 v3, vcc_lo, v3, v26
	v_add_co_ci_u32_e32 v11, vcc_lo, 0, v9, vcc_lo
	s_delay_alu instid0(VALU_DEP_2) | instskip(SKIP_1) | instid1(VALU_DEP_3)
	v_mul_lo_u32 v12, s11, v3
	v_mad_u64_u32 v[9:10], null, s10, v3, 0
	v_mul_lo_u32 v11, s10, v11
	s_delay_alu instid0(VALU_DEP_2) | instskip(NEXT) | instid1(VALU_DEP_2)
	v_sub_co_u32 v9, vcc_lo, v28, v9
	v_add3_u32 v10, v10, v11, v12
	v_add_co_u32 v12, s3, v3, 2
	s_delay_alu instid0(VALU_DEP_2) | instskip(NEXT) | instid1(VALU_DEP_1)
	v_sub_nc_u32_e32 v11, v31, v10
	v_subrev_co_ci_u32_e64 v11, s3, s11, v11, vcc_lo
	v_sub_co_u32 v26, s3, v9, s10
	v_sub_co_ci_u32_e32 v10, vcc_lo, v31, v10, vcc_lo
	s_delay_alu instid0(VALU_DEP_3) | instskip(NEXT) | instid1(VALU_DEP_3)
	v_subrev_co_ci_u32_e64 v11, s3, 0, v11, s3
	v_cmp_le_u32_e32 vcc_lo, s10, v26
	v_cndmask_b32_e64 v26, 0, -1, vcc_lo
	s_delay_alu instid0(VALU_DEP_3)
	v_cmp_le_u32_e32 vcc_lo, s11, v11
	v_cndmask_b32_e64 v27, 0, -1, vcc_lo
	v_cmp_le_u32_e32 vcc_lo, s10, v9
	v_cndmask_b32_e64 v9, 0, -1, vcc_lo
	;; [unrolled: 2-line block ×3, first 2 shown]
	v_cmp_eq_u32_e32 vcc_lo, s11, v11
	v_cndmask_b32_e32 v11, v27, v26, vcc_lo
	v_add_co_u32 v26, vcc_lo, v3, 1
	v_cmp_eq_u32_e32 vcc_lo, s11, v10
	v_cndmask_b32_e32 v9, v28, v9, vcc_lo
	s_delay_alu instid0(VALU_DEP_4) | instskip(NEXT) | instid1(VALU_DEP_4)
	v_cmp_ne_u32_e32 vcc_lo, 0, v11
	v_cndmask_b32_e32 v10, v26, v12, vcc_lo
	s_delay_alu instid0(VALU_DEP_3) | instskip(SKIP_1) | instid1(VALU_DEP_3)
	v_cmp_ne_u32_e32 vcc_lo, 0, v9
	v_xor_b32_e32 v9, s8, v30
	v_cndmask_b32_e32 v3, v3, v10, vcc_lo
	s_delay_alu instid0(VALU_DEP_1) | instskip(NEXT) | instid1(VALU_DEP_1)
	v_xor_b32_e32 v3, v3, v9
	v_sub_co_u32 v11, vcc_lo, v3, v9
                                        ; implicit-def: $vgpr9_vgpr10
.LBB19_20:                              ;   in Loop: Header=BB19_17 Depth=3
	s_and_not1_saveexec_b32 s3, s38
	s_cbranch_execz .LBB19_22
; %bb.21:                               ;   in Loop: Header=BB19_17 Depth=3
	v_cvt_f32_u32_e32 v3, s12
	s_sub_i32 s8, 0, s12
	s_delay_alu instid0(VALU_DEP_1) | instskip(SKIP_2) | instid1(VALU_DEP_1)
	v_rcp_iflag_f32_e32 v3, v3
	s_waitcnt_depctr 0xfff
	v_mul_f32_e32 v3, 0x4f7ffffe, v3
	v_cvt_u32_f32_e32 v3, v3
	s_delay_alu instid0(VALU_DEP_1) | instskip(NEXT) | instid1(VALU_DEP_1)
	v_mul_lo_u32 v10, s8, v3
	v_mul_hi_u32 v10, v3, v10
	s_delay_alu instid0(VALU_DEP_1) | instskip(NEXT) | instid1(VALU_DEP_1)
	v_add_nc_u32_e32 v3, v3, v10
	v_mul_hi_u32 v3, v9, v3
	s_delay_alu instid0(VALU_DEP_1) | instskip(NEXT) | instid1(VALU_DEP_1)
	v_mul_lo_u32 v10, v3, s12
	v_sub_nc_u32_e32 v9, v9, v10
	v_add_nc_u32_e32 v10, 1, v3
	s_delay_alu instid0(VALU_DEP_2) | instskip(SKIP_1) | instid1(VALU_DEP_2)
	v_subrev_nc_u32_e32 v11, s12, v9
	v_cmp_le_u32_e32 vcc_lo, s12, v9
	v_cndmask_b32_e32 v9, v9, v11, vcc_lo
	s_delay_alu instid0(VALU_DEP_4) | instskip(NEXT) | instid1(VALU_DEP_2)
	v_cndmask_b32_e32 v3, v3, v10, vcc_lo
	v_cmp_le_u32_e32 vcc_lo, s12, v9
	s_delay_alu instid0(VALU_DEP_2) | instskip(NEXT) | instid1(VALU_DEP_1)
	v_add_nc_u32_e32 v10, 1, v3
	v_cndmask_b32_e32 v11, v3, v10, vcc_lo
.LBB19_22:                              ;   in Loop: Header=BB19_17 Depth=3
	s_or_b32 exec_lo, exec_lo, s3
	global_load_u16 v26, v[7:8], off
	v_sub_nc_u32_e32 v3, 0, v0
	s_mov_b32 s38, 0
	s_delay_alu instid0(VALU_DEP_1) | instskip(NEXT) | instid1(VALU_DEP_1)
	v_max_i32_e32 v3, v0, v3
	v_mul_hi_u32 v9, v3, v16
	s_delay_alu instid0(VALU_DEP_1) | instskip(NEXT) | instid1(VALU_DEP_1)
	v_mul_lo_u32 v10, v9, s21
	v_sub_nc_u32_e32 v3, v3, v10
	s_delay_alu instid0(VALU_DEP_1) | instskip(SKIP_1) | instid1(VALU_DEP_2)
	v_subrev_nc_u32_e32 v12, s21, v3
	v_cmp_le_u32_e32 vcc_lo, s21, v3
	v_dual_cndmask_b32 v3, v3, v12 :: v_dual_add_nc_u32 v10, 1, v9
	s_delay_alu instid0(VALU_DEP_1) | instskip(SKIP_1) | instid1(VALU_DEP_3)
	v_cndmask_b32_e32 v9, v9, v10, vcc_lo
	v_ashrrev_i32_e32 v10, 31, v0
	v_cmp_le_u32_e32 vcc_lo, s21, v3
	s_delay_alu instid0(VALU_DEP_3) | instskip(NEXT) | instid1(VALU_DEP_3)
	v_add_nc_u32_e32 v12, 1, v9
	v_xor_b32_e32 v10, s25, v10
	s_delay_alu instid0(VALU_DEP_2) | instskip(NEXT) | instid1(VALU_DEP_1)
	v_cndmask_b32_e32 v3, v9, v12, vcc_lo
	v_xor_b32_e32 v3, v3, v10
	s_delay_alu instid0(VALU_DEP_1) | instskip(NEXT) | instid1(VALU_DEP_1)
	v_sub_nc_u32_e32 v3, v3, v10
	v_mul_lo_u32 v9, v3, s6
	v_mul_lo_u32 v3, v3, s4
	s_delay_alu instid0(VALU_DEP_2) | instskip(NEXT) | instid1(VALU_DEP_1)
	v_sub_nc_u32_e32 v0, v0, v9
	v_mul_lo_u32 v0, v0, s4
	s_delay_alu instid0(VALU_DEP_1) | instskip(NEXT) | instid1(VALU_DEP_1)
	v_sub_nc_u32_e32 v9, 0, v0
	v_max_i32_e32 v9, v0, v9
	v_ashrrev_i32_e32 v0, 31, v0
	s_delay_alu instid0(VALU_DEP_2) | instskip(NEXT) | instid1(VALU_DEP_2)
	v_mul_hi_u32 v10, v9, v16
	v_xor_b32_e32 v0, s25, v0
	s_delay_alu instid0(VALU_DEP_2) | instskip(NEXT) | instid1(VALU_DEP_1)
	v_mul_lo_u32 v12, v10, s21
	v_sub_nc_u32_e32 v9, v9, v12
	v_add_nc_u32_e32 v12, 1, v10
	s_delay_alu instid0(VALU_DEP_2) | instskip(SKIP_1) | instid1(VALU_DEP_2)
	v_subrev_nc_u32_e32 v27, s21, v9
	v_cmp_le_u32_e32 vcc_lo, s21, v9
	v_dual_cndmask_b32 v10, v10, v12 :: v_dual_cndmask_b32 v9, v9, v27
	s_delay_alu instid0(VALU_DEP_1) | instskip(NEXT) | instid1(VALU_DEP_2)
	v_add_nc_u32_e32 v12, 1, v10
	v_cmp_le_u32_e32 vcc_lo, s21, v9
	s_delay_alu instid0(VALU_DEP_2) | instskip(NEXT) | instid1(VALU_DEP_1)
	v_cndmask_b32_e32 v9, v10, v12, vcc_lo
	v_xor_b32_e32 v9, v9, v0
	s_delay_alu instid0(VALU_DEP_1) | instskip(SKIP_2) | instid1(VALU_DEP_2)
	v_sub_nc_u32_e32 v0, v9, v0
	v_not_b32_e32 v9, v11
	v_add_nc_u32_e32 v11, 1, v6
	v_add3_u32 v0, v0, v3, v9
	s_delay_alu instid0(VALU_DEP_1) | instskip(NEXT) | instid1(VALU_DEP_1)
	v_cvt_f32_i32_e32 v0, v0
	v_bfe_u32 v3, v0, 16, 1
	s_delay_alu instid0(VALU_DEP_1) | instskip(NEXT) | instid1(VALU_DEP_1)
	v_add3_u32 v0, v0, v3, 0x7fff
	v_dual_mov_b32 v0, v6 :: v_dual_and_b32 v27, 0xffff0000, v0
	v_mad_i64_i32 v[9:10], null, s29, v11, -1
	s_branch .LBB19_24
.LBB19_23:                              ;   in Loop: Header=BB19_24 Depth=4
	s_or_b32 exec_lo, exec_lo, s3
	v_add_nc_u32_e32 v28, v24, v0
	v_sub_nc_u32_e32 v12, 0, v0
	v_not_b32_e32 v11, v11
	s_delay_alu instid0(VALU_DEP_3) | instskip(NEXT) | instid1(VALU_DEP_3)
	v_ashrrev_i32_e32 v29, 31, v28
	v_max_i32_e32 v12, v0, v12
	s_delay_alu instid0(VALU_DEP_2) | instskip(NEXT) | instid1(VALU_DEP_1)
	v_lshlrev_b64 v[28:29], 1, v[28:29]
	v_add_co_u32 v28, vcc_lo, s14, v28
	s_delay_alu instid0(VALU_DEP_2) | instskip(SKIP_2) | instid1(VALU_DEP_1)
	v_add_co_ci_u32_e32 v29, vcc_lo, s15, v29, vcc_lo
	global_load_u16 v3, v[28:29], off
	v_mul_hi_u32 v28, v12, v17
	v_mul_lo_u32 v29, v28, s22
	s_delay_alu instid0(VALU_DEP_1) | instskip(NEXT) | instid1(VALU_DEP_1)
	v_sub_nc_u32_e32 v12, v12, v29
	v_subrev_nc_u32_e32 v30, s22, v12
	v_cmp_le_u32_e32 vcc_lo, s22, v12
	s_delay_alu instid0(VALU_DEP_2) | instskip(NEXT) | instid1(VALU_DEP_1)
	v_dual_cndmask_b32 v12, v12, v30 :: v_dual_add_nc_u32 v29, 1, v28
	v_cndmask_b32_e32 v28, v28, v29, vcc_lo
	v_ashrrev_i32_e32 v29, 31, v0
	s_delay_alu instid0(VALU_DEP_3) | instskip(NEXT) | instid1(VALU_DEP_2)
	v_cmp_le_u32_e32 vcc_lo, s22, v12
	v_xor_b32_e32 v29, s27, v29
	s_waitcnt vmcnt(0)
	v_lshlrev_b32_e32 v3, 16, v3
	s_delay_alu instid0(VALU_DEP_1) | instskip(NEXT) | instid1(VALU_DEP_1)
	v_div_scale_f32 v31, null, v27, v27, v3
	v_rcp_f32_e32 v33, v31
	v_add_nc_u32_e32 v30, 1, v28
	s_delay_alu instid0(VALU_DEP_1) | instskip(SKIP_1) | instid1(VALU_DEP_2)
	v_cndmask_b32_e32 v12, v28, v30, vcc_lo
	v_div_scale_f32 v36, vcc_lo, v3, v27, v3
	v_xor_b32_e32 v12, v12, v29
	s_delay_alu instid0(VALU_DEP_1) | instskip(NEXT) | instid1(VALU_DEP_1)
	v_sub_nc_u32_e32 v12, v12, v29
	v_mad_u64_u32 v[28:29], null, s31, v12, v[0:1]
	v_mul_lo_u32 v12, v12, s5
	v_add_nc_u32_e32 v0, 1, v0
	s_delay_alu instid0(VALU_DEP_3) | instskip(NEXT) | instid1(VALU_DEP_1)
	v_mul_lo_u32 v28, v28, s5
	v_sub_nc_u32_e32 v29, 0, v28
	s_delay_alu instid0(VALU_DEP_1) | instskip(SKIP_1) | instid1(VALU_DEP_2)
	v_max_i32_e32 v29, v28, v29
	v_ashrrev_i32_e32 v28, 31, v28
	v_mul_hi_u32 v30, v29, v17
	s_delay_alu instid0(VALU_DEP_2) | instskip(NEXT) | instid1(VALU_DEP_2)
	v_xor_b32_e32 v28, s27, v28
	v_mul_lo_u32 v32, v30, s22
	v_add_nc_u32_e32 v34, 1, v30
	s_delay_alu instid0(VALU_DEP_2) | instskip(SKIP_1) | instid1(VALU_DEP_2)
	v_sub_nc_u32_e32 v29, v29, v32
	v_fma_f32 v32, -v31, v33, 1.0
	v_subrev_nc_u32_e32 v35, s22, v29
	s_delay_alu instid0(VALU_DEP_2) | instskip(SKIP_1) | instid1(VALU_DEP_2)
	v_fmac_f32_e32 v33, v32, v33
	v_cmp_le_u32_e64 s3, s22, v29
	v_mul_f32_e32 v32, v36, v33
	s_delay_alu instid0(VALU_DEP_2) | instskip(SKIP_1) | instid1(VALU_DEP_3)
	v_cndmask_b32_e64 v30, v30, v34, s3
	v_cndmask_b32_e64 v29, v29, v35, s3
	v_fma_f32 v35, -v31, v32, v36
	s_delay_alu instid0(VALU_DEP_3) | instskip(NEXT) | instid1(VALU_DEP_3)
	v_add_nc_u32_e32 v34, 1, v30
	v_cmp_le_u32_e64 s3, s22, v29
	s_delay_alu instid0(VALU_DEP_3) | instskip(NEXT) | instid1(VALU_DEP_2)
	v_fmac_f32_e32 v32, v35, v33
	v_cndmask_b32_e64 v29, v30, v34, s3
	s_delay_alu instid0(VALU_DEP_2) | instskip(NEXT) | instid1(VALU_DEP_2)
	v_fma_f32 v30, -v31, v32, v36
	v_xor_b32_e32 v29, v29, v28
	s_delay_alu instid0(VALU_DEP_1) | instskip(NEXT) | instid1(VALU_DEP_3)
	v_sub_nc_u32_e32 v28, v29, v28
	v_div_fmas_f32 v29, v30, v33, v32
	s_delay_alu instid0(VALU_DEP_2) | instskip(NEXT) | instid1(VALU_DEP_2)
	v_add3_u32 v11, v28, v12, v11
	v_div_fixup_f32 v3, v29, v27, v3
	s_delay_alu instid0(VALU_DEP_2) | instskip(NEXT) | instid1(VALU_DEP_2)
	v_cvt_f32_i32_e32 v11, v11
	v_bfe_u32 v12, v3, 16, 1
	v_cmp_o_f32_e32 vcc_lo, v3, v3
	s_delay_alu instid0(VALU_DEP_3) | instskip(NEXT) | instid1(VALU_DEP_3)
	v_bfe_u32 v28, v11, 16, 1
	v_add3_u32 v12, v3, v12, 0x7fff
	s_delay_alu instid0(VALU_DEP_2) | instskip(NEXT) | instid1(VALU_DEP_2)
	v_add3_u32 v11, v11, v28, 0x7fff
	v_and_b32_e32 v12, 0xffff0000, v12
	s_delay_alu instid0(VALU_DEP_2) | instskip(NEXT) | instid1(VALU_DEP_2)
	v_and_b32_e32 v11, 0xffff0000, v11
	v_cndmask_b32_e32 v3, 0x7fc00000, v12, vcc_lo
	s_delay_alu instid0(VALU_DEP_1) | instskip(SKIP_1) | instid1(VALU_DEP_2)
	v_div_scale_f32 v12, null, v11, v11, v3
	v_div_scale_f32 v30, vcc_lo, v3, v11, v3
	v_rcp_f32_e32 v28, v12
	s_waitcnt_depctr 0xfff
	v_fma_f32 v29, -v12, v28, 1.0
	s_delay_alu instid0(VALU_DEP_1) | instskip(NEXT) | instid1(VALU_DEP_1)
	v_fmac_f32_e32 v28, v29, v28
	v_mul_f32_e32 v29, v30, v28
	s_delay_alu instid0(VALU_DEP_1) | instskip(NEXT) | instid1(VALU_DEP_1)
	v_fma_f32 v31, -v12, v29, v30
	v_fmac_f32_e32 v29, v31, v28
	s_delay_alu instid0(VALU_DEP_1) | instskip(NEXT) | instid1(VALU_DEP_1)
	v_fma_f32 v12, -v12, v29, v30
	v_div_fmas_f32 v12, v12, v28, v29
	s_delay_alu instid0(VALU_DEP_1) | instskip(SKIP_1) | instid1(VALU_DEP_2)
	v_div_fixup_f32 v3, v12, v11, v3
	v_lshlrev_b32_e32 v12, 16, v26
	v_bfe_u32 v11, v3, 16, 1
	v_cmp_o_f32_e32 vcc_lo, v3, v3
	s_delay_alu instid0(VALU_DEP_2) | instskip(NEXT) | instid1(VALU_DEP_1)
	v_add3_u32 v11, v3, v11, 0x7fff
	v_and_b32_e32 v11, 0xffff0000, v11
	s_delay_alu instid0(VALU_DEP_1) | instskip(SKIP_1) | instid1(VALU_DEP_2)
	v_cndmask_b32_e32 v3, 0x7fc00000, v11, vcc_lo
	v_cmp_ge_i32_e32 vcc_lo, v0, v23
	v_add_f32_e32 v3, v3, v12
	s_or_b32 s38, vcc_lo, s38
	s_delay_alu instid0(VALU_DEP_1) | instskip(SKIP_1) | instid1(VALU_DEP_2)
	v_bfe_u32 v11, v3, 16, 1
	v_cmp_o_f32_e64 s3, v3, v3
	v_add3_u32 v11, v3, v11, 0x7fff
	s_delay_alu instid0(VALU_DEP_1) | instskip(NEXT) | instid1(VALU_DEP_1)
	v_lshrrev_b32_e32 v11, 16, v11
	v_cndmask_b32_e64 v26, 0x7fc0, v11, s3
	v_add_co_u32 v9, s3, v9, s29
	s_delay_alu instid0(VALU_DEP_1)
	v_add_co_ci_u32_e64 v10, s3, s28, v10, s3
	global_store_b16 v[7:8], v26, off
	s_and_not1_b32 exec_lo, exec_lo, s38
	s_cbranch_execz .LBB19_16
.LBB19_24:                              ;   Parent Loop BB19_3 Depth=1
                                        ;     Parent Loop BB19_10 Depth=2
                                        ;       Parent Loop BB19_17 Depth=3
                                        ; =>      This Inner Loop Header: Depth=4
	s_delay_alu instid0(VALU_DEP_1) | instskip(SKIP_1) | instid1(VALU_DEP_1)
	v_or_b32_e32 v3, s27, v10
                                        ; implicit-def: $vgpr11_vgpr12
	s_mov_b32 s3, exec_lo
	v_cmpx_ne_u64_e32 0, v[2:3]
	s_xor_b32 s39, exec_lo, s3
	s_cbranch_execz .LBB19_26
; %bb.25:                               ;   in Loop: Header=BB19_24 Depth=4
	s_add_u32 s10, s16, s27
	s_mov_b32 s8, s27
	s_mov_b32 s9, s27
	s_addc_u32 s11, s27, s27
	s_delay_alu instid0(SALU_CYCLE_1) | instskip(NEXT) | instid1(SALU_CYCLE_1)
	s_xor_b64 s[10:11], s[10:11], s[8:9]
	v_cvt_f32_u32_e32 v3, s10
	v_cvt_f32_u32_e32 v11, s11
	s_sub_u32 s3, 0, s10
	s_subb_u32 s9, 0, s11
	s_delay_alu instid0(VALU_DEP_1) | instskip(NEXT) | instid1(VALU_DEP_1)
	v_fmac_f32_e32 v3, 0x4f800000, v11
	v_rcp_f32_e32 v3, v3
	s_waitcnt_depctr 0xfff
	v_mul_f32_e32 v3, 0x5f7ffffc, v3
	s_delay_alu instid0(VALU_DEP_1) | instskip(NEXT) | instid1(VALU_DEP_1)
	v_mul_f32_e32 v11, 0x2f800000, v3
	v_trunc_f32_e32 v11, v11
	s_delay_alu instid0(VALU_DEP_1) | instskip(SKIP_1) | instid1(VALU_DEP_2)
	v_fmac_f32_e32 v3, 0xcf800000, v11
	v_cvt_u32_f32_e32 v11, v11
	v_cvt_u32_f32_e32 v3, v3
	s_delay_alu instid0(VALU_DEP_2) | instskip(NEXT) | instid1(VALU_DEP_2)
	v_mul_lo_u32 v12, s3, v11
	v_mul_hi_u32 v28, s3, v3
	v_mul_lo_u32 v29, s9, v3
	s_delay_alu instid0(VALU_DEP_2) | instskip(SKIP_1) | instid1(VALU_DEP_2)
	v_add_nc_u32_e32 v12, v28, v12
	v_mul_lo_u32 v28, s3, v3
	v_add_nc_u32_e32 v12, v12, v29
	s_delay_alu instid0(VALU_DEP_2) | instskip(NEXT) | instid1(VALU_DEP_2)
	v_mul_hi_u32 v29, v3, v28
	v_mul_lo_u32 v30, v3, v12
	v_mul_hi_u32 v31, v3, v12
	v_mul_hi_u32 v32, v11, v28
	v_mul_lo_u32 v28, v11, v28
	v_mul_hi_u32 v33, v11, v12
	v_mul_lo_u32 v12, v11, v12
	v_add_co_u32 v29, vcc_lo, v29, v30
	v_add_co_ci_u32_e32 v30, vcc_lo, 0, v31, vcc_lo
	s_delay_alu instid0(VALU_DEP_2) | instskip(NEXT) | instid1(VALU_DEP_2)
	v_add_co_u32 v28, vcc_lo, v29, v28
	v_add_co_ci_u32_e32 v28, vcc_lo, v30, v32, vcc_lo
	v_add_co_ci_u32_e32 v29, vcc_lo, 0, v33, vcc_lo
	v_ashrrev_i32_e32 v32, 31, v10
	s_delay_alu instid0(VALU_DEP_3) | instskip(NEXT) | instid1(VALU_DEP_3)
	v_add_co_u32 v12, vcc_lo, v28, v12
	v_add_co_ci_u32_e32 v28, vcc_lo, 0, v29, vcc_lo
	s_delay_alu instid0(VALU_DEP_2) | instskip(NEXT) | instid1(VALU_DEP_2)
	v_add_co_u32 v3, vcc_lo, v3, v12
	v_add_co_ci_u32_e32 v11, vcc_lo, v11, v28, vcc_lo
	s_delay_alu instid0(VALU_DEP_2) | instskip(SKIP_1) | instid1(VALU_DEP_3)
	v_mul_hi_u32 v12, s3, v3
	v_mul_lo_u32 v29, s9, v3
	v_mul_lo_u32 v28, s3, v11
	s_delay_alu instid0(VALU_DEP_1) | instskip(SKIP_1) | instid1(VALU_DEP_2)
	v_add_nc_u32_e32 v12, v12, v28
	v_mul_lo_u32 v28, s3, v3
	v_add_nc_u32_e32 v12, v12, v29
	s_delay_alu instid0(VALU_DEP_2) | instskip(NEXT) | instid1(VALU_DEP_2)
	v_mul_hi_u32 v29, v3, v28
	v_mul_lo_u32 v30, v3, v12
	v_mul_hi_u32 v31, v3, v12
	v_mul_hi_u32 v33, v11, v28
	v_mul_lo_u32 v28, v11, v28
	v_mul_hi_u32 v34, v11, v12
	v_mul_lo_u32 v12, v11, v12
	v_add_co_u32 v29, vcc_lo, v29, v30
	v_add_co_ci_u32_e32 v30, vcc_lo, 0, v31, vcc_lo
	s_delay_alu instid0(VALU_DEP_2) | instskip(NEXT) | instid1(VALU_DEP_2)
	v_add_co_u32 v28, vcc_lo, v29, v28
	v_add_co_ci_u32_e32 v28, vcc_lo, v30, v33, vcc_lo
	v_add_co_ci_u32_e32 v29, vcc_lo, 0, v34, vcc_lo
	v_add_co_u32 v30, vcc_lo, v9, v32
	v_add_co_ci_u32_e32 v31, vcc_lo, v10, v32, vcc_lo
	s_delay_alu instid0(VALU_DEP_4) | instskip(NEXT) | instid1(VALU_DEP_4)
	v_add_co_u32 v12, vcc_lo, v28, v12
	v_add_co_ci_u32_e32 v28, vcc_lo, 0, v29, vcc_lo
	s_delay_alu instid0(VALU_DEP_4) | instskip(NEXT) | instid1(VALU_DEP_3)
	v_xor_b32_e32 v33, v30, v32
	v_add_co_u32 v3, vcc_lo, v3, v12
	s_delay_alu instid0(VALU_DEP_3) | instskip(SKIP_1) | instid1(VALU_DEP_3)
	v_add_co_ci_u32_e32 v34, vcc_lo, v11, v28, vcc_lo
	v_xor_b32_e32 v35, v31, v32
	v_mul_hi_u32 v36, v33, v3
	s_delay_alu instid0(VALU_DEP_3) | instskip(NEXT) | instid1(VALU_DEP_3)
	v_mad_u64_u32 v[11:12], null, v33, v34, 0
	v_mad_u64_u32 v[28:29], null, v35, v3, 0
	;; [unrolled: 1-line block ×3, first 2 shown]
	s_delay_alu instid0(VALU_DEP_3) | instskip(NEXT) | instid1(VALU_DEP_4)
	v_add_co_u32 v3, vcc_lo, v36, v11
	v_add_co_ci_u32_e32 v11, vcc_lo, 0, v12, vcc_lo
	s_delay_alu instid0(VALU_DEP_2) | instskip(NEXT) | instid1(VALU_DEP_2)
	v_add_co_u32 v3, vcc_lo, v3, v28
	v_add_co_ci_u32_e32 v3, vcc_lo, v11, v29, vcc_lo
	v_add_co_ci_u32_e32 v11, vcc_lo, 0, v31, vcc_lo
	s_delay_alu instid0(VALU_DEP_2) | instskip(NEXT) | instid1(VALU_DEP_2)
	v_add_co_u32 v3, vcc_lo, v3, v30
	v_add_co_ci_u32_e32 v28, vcc_lo, 0, v11, vcc_lo
	s_delay_alu instid0(VALU_DEP_2) | instskip(SKIP_1) | instid1(VALU_DEP_3)
	v_mul_lo_u32 v29, s11, v3
	v_mad_u64_u32 v[11:12], null, s10, v3, 0
	v_mul_lo_u32 v28, s10, v28
	s_delay_alu instid0(VALU_DEP_2) | instskip(NEXT) | instid1(VALU_DEP_2)
	v_sub_co_u32 v11, vcc_lo, v33, v11
	v_add3_u32 v12, v12, v28, v29
	v_add_co_u32 v29, s3, v3, 2
	s_delay_alu instid0(VALU_DEP_2) | instskip(NEXT) | instid1(VALU_DEP_1)
	v_sub_nc_u32_e32 v28, v35, v12
	v_subrev_co_ci_u32_e64 v28, s3, s11, v28, vcc_lo
	v_sub_co_u32 v30, s3, v11, s10
	v_sub_co_ci_u32_e32 v12, vcc_lo, v35, v12, vcc_lo
	s_delay_alu instid0(VALU_DEP_3) | instskip(NEXT) | instid1(VALU_DEP_3)
	v_subrev_co_ci_u32_e64 v28, s3, 0, v28, s3
	v_cmp_le_u32_e32 vcc_lo, s10, v30
	v_cndmask_b32_e64 v30, 0, -1, vcc_lo
	s_delay_alu instid0(VALU_DEP_3)
	v_cmp_le_u32_e32 vcc_lo, s11, v28
	v_cndmask_b32_e64 v31, 0, -1, vcc_lo
	v_cmp_le_u32_e32 vcc_lo, s10, v11
	v_cndmask_b32_e64 v11, 0, -1, vcc_lo
	v_cmp_le_u32_e32 vcc_lo, s11, v12
	v_cndmask_b32_e64 v33, 0, -1, vcc_lo
	v_cmp_eq_u32_e32 vcc_lo, s11, v28
	v_cndmask_b32_e32 v28, v31, v30, vcc_lo
	v_add_co_u32 v30, vcc_lo, v3, 1
	v_cmp_eq_u32_e32 vcc_lo, s11, v12
	v_cndmask_b32_e32 v11, v33, v11, vcc_lo
	s_delay_alu instid0(VALU_DEP_4) | instskip(NEXT) | instid1(VALU_DEP_4)
	v_cmp_ne_u32_e32 vcc_lo, 0, v28
	v_cndmask_b32_e32 v12, v30, v29, vcc_lo
	s_delay_alu instid0(VALU_DEP_3) | instskip(SKIP_1) | instid1(VALU_DEP_3)
	v_cmp_ne_u32_e32 vcc_lo, 0, v11
	v_xor_b32_e32 v11, s8, v32
	v_cndmask_b32_e32 v3, v3, v12, vcc_lo
	s_delay_alu instid0(VALU_DEP_1) | instskip(NEXT) | instid1(VALU_DEP_1)
	v_xor_b32_e32 v3, v3, v11
	v_sub_co_u32 v11, vcc_lo, v3, v11
.LBB19_26:                              ;   in Loop: Header=BB19_24 Depth=4
	s_and_not1_saveexec_b32 s3, s39
	s_cbranch_execz .LBB19_23
; %bb.27:                               ;   in Loop: Header=BB19_24 Depth=4
	v_cvt_f32_u32_e32 v3, s16
	s_sub_i32 s8, 0, s16
	s_delay_alu instid0(VALU_DEP_1) | instskip(SKIP_2) | instid1(VALU_DEP_1)
	v_rcp_iflag_f32_e32 v3, v3
	s_waitcnt_depctr 0xfff
	v_mul_f32_e32 v3, 0x4f7ffffe, v3
	v_cvt_u32_f32_e32 v3, v3
	s_delay_alu instid0(VALU_DEP_1) | instskip(NEXT) | instid1(VALU_DEP_1)
	v_mul_lo_u32 v11, s8, v3
	v_mul_hi_u32 v11, v3, v11
	s_delay_alu instid0(VALU_DEP_1) | instskip(NEXT) | instid1(VALU_DEP_1)
	v_add_nc_u32_e32 v3, v3, v11
	v_mul_hi_u32 v3, v9, v3
	s_delay_alu instid0(VALU_DEP_1) | instskip(NEXT) | instid1(VALU_DEP_1)
	v_mul_lo_u32 v11, v3, s16
	v_sub_nc_u32_e32 v11, v9, v11
	s_delay_alu instid0(VALU_DEP_1) | instskip(SKIP_1) | instid1(VALU_DEP_2)
	v_subrev_nc_u32_e32 v28, s16, v11
	v_cmp_le_u32_e32 vcc_lo, s16, v11
	v_dual_cndmask_b32 v11, v11, v28 :: v_dual_add_nc_u32 v12, 1, v3
	s_delay_alu instid0(VALU_DEP_1) | instskip(NEXT) | instid1(VALU_DEP_2)
	v_cndmask_b32_e32 v3, v3, v12, vcc_lo
	v_cmp_le_u32_e32 vcc_lo, s16, v11
	s_delay_alu instid0(VALU_DEP_2) | instskip(NEXT) | instid1(VALU_DEP_1)
	v_add_nc_u32_e32 v12, 1, v3
	v_cndmask_b32_e32 v11, v3, v12, vcc_lo
	s_branch .LBB19_23
.LBB19_28:
	s_nop 0
	s_sendmsg sendmsg(MSG_DEALLOC_VGPRS)
	s_endpgm
	.section	.rodata,"a",@progbits
	.p2align	6, 0x0
	.amdhsa_kernel _ZN2at6native12_GLOBAL__N_126adaptive_average_gradinputIN3c108BFloat16EEEvPT_PKS5_iiii
		.amdhsa_group_segment_fixed_size 0
		.amdhsa_private_segment_fixed_size 0
		.amdhsa_kernarg_size 288
		.amdhsa_user_sgpr_count 14
		.amdhsa_user_sgpr_dispatch_ptr 0
		.amdhsa_user_sgpr_queue_ptr 0
		.amdhsa_user_sgpr_kernarg_segment_ptr 1
		.amdhsa_user_sgpr_dispatch_id 0
		.amdhsa_user_sgpr_private_segment_size 0
		.amdhsa_wavefront_size32 1
		.amdhsa_uses_dynamic_stack 0
		.amdhsa_enable_private_segment 0
		.amdhsa_system_sgpr_workgroup_id_x 1
		.amdhsa_system_sgpr_workgroup_id_y 1
		.amdhsa_system_sgpr_workgroup_id_z 0
		.amdhsa_system_sgpr_workgroup_info 0
		.amdhsa_system_vgpr_workitem_id 1
		.amdhsa_next_free_vgpr 37
		.amdhsa_next_free_sgpr 40
		.amdhsa_reserve_vcc 1
		.amdhsa_float_round_mode_32 0
		.amdhsa_float_round_mode_16_64 0
		.amdhsa_float_denorm_mode_32 3
		.amdhsa_float_denorm_mode_16_64 3
		.amdhsa_dx10_clamp 1
		.amdhsa_ieee_mode 1
		.amdhsa_fp16_overflow 0
		.amdhsa_workgroup_processor_mode 1
		.amdhsa_memory_ordered 1
		.amdhsa_forward_progress 0
		.amdhsa_shared_vgpr_count 0
		.amdhsa_exception_fp_ieee_invalid_op 0
		.amdhsa_exception_fp_denorm_src 0
		.amdhsa_exception_fp_ieee_div_zero 0
		.amdhsa_exception_fp_ieee_overflow 0
		.amdhsa_exception_fp_ieee_underflow 0
		.amdhsa_exception_fp_ieee_inexact 0
		.amdhsa_exception_int_div_zero 0
	.end_amdhsa_kernel
	.section	.text._ZN2at6native12_GLOBAL__N_126adaptive_average_gradinputIN3c108BFloat16EEEvPT_PKS5_iiii,"axG",@progbits,_ZN2at6native12_GLOBAL__N_126adaptive_average_gradinputIN3c108BFloat16EEEvPT_PKS5_iiii,comdat
.Lfunc_end19:
	.size	_ZN2at6native12_GLOBAL__N_126adaptive_average_gradinputIN3c108BFloat16EEEvPT_PKS5_iiii, .Lfunc_end19-_ZN2at6native12_GLOBAL__N_126adaptive_average_gradinputIN3c108BFloat16EEEvPT_PKS5_iiii
                                        ; -- End function
	.section	.AMDGPU.csdata,"",@progbits
; Kernel info:
; codeLenInByte = 6080
; NumSgprs: 42
; NumVgprs: 37
; ScratchSize: 0
; MemoryBound: 0
; FloatMode: 240
; IeeeMode: 1
; LDSByteSize: 0 bytes/workgroup (compile time only)
; SGPRBlocks: 5
; VGPRBlocks: 4
; NumSGPRsForWavesPerEU: 42
; NumVGPRsForWavesPerEU: 37
; Occupancy: 16
; WaveLimiterHint : 0
; COMPUTE_PGM_RSRC2:SCRATCH_EN: 0
; COMPUTE_PGM_RSRC2:USER_SGPR: 14
; COMPUTE_PGM_RSRC2:TRAP_HANDLER: 0
; COMPUTE_PGM_RSRC2:TGID_X_EN: 1
; COMPUTE_PGM_RSRC2:TGID_Y_EN: 1
; COMPUTE_PGM_RSRC2:TGID_Z_EN: 0
; COMPUTE_PGM_RSRC2:TIDIG_COMP_CNT: 1
	.text
	.p2alignl 7, 3214868480
	.fill 96, 4, 3214868480
	.type	__hip_cuid_a5300503798d0449,@object ; @__hip_cuid_a5300503798d0449
	.section	.bss,"aw",@nobits
	.globl	__hip_cuid_a5300503798d0449
__hip_cuid_a5300503798d0449:
	.byte	0                               ; 0x0
	.size	__hip_cuid_a5300503798d0449, 1

	.ident	"AMD clang version 19.0.0git (https://github.com/RadeonOpenCompute/llvm-project roc-6.4.0 25133 c7fe45cf4b819c5991fe208aaa96edf142730f1d)"
	.section	".note.GNU-stack","",@progbits
	.addrsig
	.addrsig_sym __hip_cuid_a5300503798d0449
	.amdgpu_metadata
---
amdhsa.kernels:
  - .args:
      - .actual_access:  read_only
        .address_space:  global
        .offset:         0
        .size:           8
        .value_kind:     global_buffer
      - .actual_access:  write_only
        .address_space:  global
        .offset:         8
        .size:           8
        .value_kind:     global_buffer
      - .offset:         16
        .size:           4
        .value_kind:     by_value
      - .offset:         20
        .size:           4
        .value_kind:     by_value
      - .offset:         24
        .size:           4
        .value_kind:     by_value
      - .offset:         28
        .size:           4
        .value_kind:     by_value
      - .offset:         32
        .size:           4
        .value_kind:     by_value
      - .offset:         36
        .size:           4
        .value_kind:     by_value
      - .offset:         40
        .size:           4
        .value_kind:     by_value
      - .offset:         44
        .size:           4
        .value_kind:     by_value
      - .offset:         48
        .size:           4
        .value_kind:     by_value
      - .offset:         52
        .size:           4
        .value_kind:     by_value
      - .offset:         56
        .size:           4
        .value_kind:     by_value
      - .offset:         60
        .size:           4
        .value_kind:     by_value
      - .offset:         64
        .size:           4
        .value_kind:     hidden_block_count_x
      - .offset:         68
        .size:           4
        .value_kind:     hidden_block_count_y
      - .offset:         72
        .size:           4
        .value_kind:     hidden_block_count_z
      - .offset:         76
        .size:           2
        .value_kind:     hidden_group_size_x
      - .offset:         78
        .size:           2
        .value_kind:     hidden_group_size_y
      - .offset:         80
        .size:           2
        .value_kind:     hidden_group_size_z
      - .offset:         82
        .size:           2
        .value_kind:     hidden_remainder_x
      - .offset:         84
        .size:           2
        .value_kind:     hidden_remainder_y
      - .offset:         86
        .size:           2
        .value_kind:     hidden_remainder_z
      - .offset:         104
        .size:           8
        .value_kind:     hidden_global_offset_x
      - .offset:         112
        .size:           8
        .value_kind:     hidden_global_offset_y
      - .offset:         120
        .size:           8
        .value_kind:     hidden_global_offset_z
      - .offset:         128
        .size:           2
        .value_kind:     hidden_grid_dims
      - .offset:         184
        .size:           4
        .value_kind:     hidden_dynamic_lds_size
    .group_segment_fixed_size: 0
    .kernarg_segment_align: 8
    .kernarg_segment_size: 320
    .language:       OpenCL C
    .language_version:
      - 2
      - 0
    .max_flat_workgroup_size: 1024
    .name:           _ZN2at6native12_GLOBAL__N_126adaptive_average_pool_nhwcIidEEvPKT0_PS3_iiiiiiiiT_S7_S7_S7_
    .private_segment_fixed_size: 0
    .sgpr_count:     37
    .sgpr_spill_count: 0
    .symbol:         _ZN2at6native12_GLOBAL__N_126adaptive_average_pool_nhwcIidEEvPKT0_PS3_iiiiiiiiT_S7_S7_S7_.kd
    .uniform_work_group_size: 1
    .uses_dynamic_stack: false
    .vgpr_count:     31
    .vgpr_spill_count: 0
    .wavefront_size: 32
    .workgroup_processor_mode: 1
  - .args:
      - .actual_access:  read_only
        .address_space:  global
        .offset:         0
        .size:           8
        .value_kind:     global_buffer
      - .actual_access:  write_only
        .address_space:  global
        .offset:         8
        .size:           8
        .value_kind:     global_buffer
      - .offset:         16
        .size:           4
        .value_kind:     by_value
      - .offset:         20
        .size:           4
        .value_kind:     by_value
      - .offset:         24
        .size:           4
        .value_kind:     by_value
      - .offset:         28
        .size:           4
        .value_kind:     by_value
      - .offset:         32
        .size:           4
        .value_kind:     by_value
      - .offset:         36
        .size:           4
        .value_kind:     by_value
      - .offset:         40
        .size:           4
        .value_kind:     by_value
      - .offset:         44
        .size:           4
        .value_kind:     by_value
      - .offset:         48
        .size:           4
        .value_kind:     by_value
      - .offset:         52
        .size:           4
        .value_kind:     by_value
      - .offset:         56
        .size:           4
        .value_kind:     by_value
      - .offset:         60
        .size:           4
        .value_kind:     by_value
      - .offset:         64
        .size:           4
        .value_kind:     hidden_block_count_x
      - .offset:         68
        .size:           4
        .value_kind:     hidden_block_count_y
      - .offset:         72
        .size:           4
        .value_kind:     hidden_block_count_z
      - .offset:         76
        .size:           2
        .value_kind:     hidden_group_size_x
      - .offset:         78
        .size:           2
        .value_kind:     hidden_group_size_y
      - .offset:         80
        .size:           2
        .value_kind:     hidden_group_size_z
      - .offset:         82
        .size:           2
        .value_kind:     hidden_remainder_x
      - .offset:         84
        .size:           2
        .value_kind:     hidden_remainder_y
      - .offset:         86
        .size:           2
        .value_kind:     hidden_remainder_z
      - .offset:         104
        .size:           8
        .value_kind:     hidden_global_offset_x
      - .offset:         112
        .size:           8
        .value_kind:     hidden_global_offset_y
      - .offset:         120
        .size:           8
        .value_kind:     hidden_global_offset_z
      - .offset:         128
        .size:           2
        .value_kind:     hidden_grid_dims
      - .offset:         184
        .size:           4
        .value_kind:     hidden_dynamic_lds_size
    .group_segment_fixed_size: 0
    .kernarg_segment_align: 8
    .kernarg_segment_size: 320
    .language:       OpenCL C
    .language_version:
      - 2
      - 0
    .max_flat_workgroup_size: 1024
    .name:           _ZN2at6native12_GLOBAL__N_126adaptive_average_pool_nhwcIifEEvPKT0_PS3_iiiiiiiiT_S7_S7_S7_
    .private_segment_fixed_size: 0
    .sgpr_count:     37
    .sgpr_spill_count: 0
    .symbol:         _ZN2at6native12_GLOBAL__N_126adaptive_average_pool_nhwcIifEEvPKT0_PS3_iiiiiiiiT_S7_S7_S7_.kd
    .uniform_work_group_size: 1
    .uses_dynamic_stack: false
    .vgpr_count:     29
    .vgpr_spill_count: 0
    .wavefront_size: 32
    .workgroup_processor_mode: 1
  - .args:
      - .actual_access:  read_only
        .address_space:  global
        .offset:         0
        .size:           8
        .value_kind:     global_buffer
      - .actual_access:  write_only
        .address_space:  global
        .offset:         8
        .size:           8
        .value_kind:     global_buffer
      - .offset:         16
        .size:           4
        .value_kind:     by_value
      - .offset:         20
        .size:           4
        .value_kind:     by_value
      - .offset:         24
        .size:           4
        .value_kind:     by_value
      - .offset:         28
        .size:           4
        .value_kind:     by_value
      - .offset:         32
        .size:           4
        .value_kind:     by_value
      - .offset:         36
        .size:           4
        .value_kind:     by_value
      - .offset:         40
        .size:           4
        .value_kind:     by_value
      - .offset:         44
        .size:           4
        .value_kind:     by_value
      - .offset:         48
        .size:           4
        .value_kind:     by_value
      - .offset:         52
        .size:           4
        .value_kind:     by_value
      - .offset:         56
        .size:           4
        .value_kind:     by_value
      - .offset:         60
        .size:           4
        .value_kind:     by_value
      - .offset:         64
        .size:           4
        .value_kind:     hidden_block_count_x
      - .offset:         68
        .size:           4
        .value_kind:     hidden_block_count_y
      - .offset:         72
        .size:           4
        .value_kind:     hidden_block_count_z
      - .offset:         76
        .size:           2
        .value_kind:     hidden_group_size_x
      - .offset:         78
        .size:           2
        .value_kind:     hidden_group_size_y
      - .offset:         80
        .size:           2
        .value_kind:     hidden_group_size_z
      - .offset:         82
        .size:           2
        .value_kind:     hidden_remainder_x
      - .offset:         84
        .size:           2
        .value_kind:     hidden_remainder_y
      - .offset:         86
        .size:           2
        .value_kind:     hidden_remainder_z
      - .offset:         104
        .size:           8
        .value_kind:     hidden_global_offset_x
      - .offset:         112
        .size:           8
        .value_kind:     hidden_global_offset_y
      - .offset:         120
        .size:           8
        .value_kind:     hidden_global_offset_z
      - .offset:         128
        .size:           2
        .value_kind:     hidden_grid_dims
      - .offset:         184
        .size:           4
        .value_kind:     hidden_dynamic_lds_size
    .group_segment_fixed_size: 0
    .kernarg_segment_align: 8
    .kernarg_segment_size: 320
    .language:       OpenCL C
    .language_version:
      - 2
      - 0
    .max_flat_workgroup_size: 1024
    .name:           _ZN2at6native12_GLOBAL__N_126adaptive_average_pool_nhwcIiN3c104HalfEEEvPKT0_PS5_iiiiiiiiT_S9_S9_S9_
    .private_segment_fixed_size: 0
    .sgpr_count:     37
    .sgpr_spill_count: 0
    .symbol:         _ZN2at6native12_GLOBAL__N_126adaptive_average_pool_nhwcIiN3c104HalfEEEvPKT0_PS5_iiiiiiiiT_S9_S9_S9_.kd
    .uniform_work_group_size: 1
    .uses_dynamic_stack: false
    .vgpr_count:     29
    .vgpr_spill_count: 0
    .wavefront_size: 32
    .workgroup_processor_mode: 1
  - .args:
      - .actual_access:  read_only
        .address_space:  global
        .offset:         0
        .size:           8
        .value_kind:     global_buffer
      - .actual_access:  write_only
        .address_space:  global
        .offset:         8
        .size:           8
        .value_kind:     global_buffer
      - .offset:         16
        .size:           4
        .value_kind:     by_value
      - .offset:         20
        .size:           4
        .value_kind:     by_value
      - .offset:         24
        .size:           4
        .value_kind:     by_value
      - .offset:         28
        .size:           4
        .value_kind:     by_value
      - .offset:         32
        .size:           4
        .value_kind:     by_value
      - .offset:         36
        .size:           4
        .value_kind:     by_value
      - .offset:         40
        .size:           4
        .value_kind:     by_value
      - .offset:         44
        .size:           4
        .value_kind:     by_value
      - .offset:         48
        .size:           4
        .value_kind:     by_value
      - .offset:         52
        .size:           4
        .value_kind:     by_value
      - .offset:         56
        .size:           4
        .value_kind:     by_value
      - .offset:         60
        .size:           4
        .value_kind:     by_value
      - .offset:         64
        .size:           4
        .value_kind:     hidden_block_count_x
      - .offset:         68
        .size:           4
        .value_kind:     hidden_block_count_y
      - .offset:         72
        .size:           4
        .value_kind:     hidden_block_count_z
      - .offset:         76
        .size:           2
        .value_kind:     hidden_group_size_x
      - .offset:         78
        .size:           2
        .value_kind:     hidden_group_size_y
      - .offset:         80
        .size:           2
        .value_kind:     hidden_group_size_z
      - .offset:         82
        .size:           2
        .value_kind:     hidden_remainder_x
      - .offset:         84
        .size:           2
        .value_kind:     hidden_remainder_y
      - .offset:         86
        .size:           2
        .value_kind:     hidden_remainder_z
      - .offset:         104
        .size:           8
        .value_kind:     hidden_global_offset_x
      - .offset:         112
        .size:           8
        .value_kind:     hidden_global_offset_y
      - .offset:         120
        .size:           8
        .value_kind:     hidden_global_offset_z
      - .offset:         128
        .size:           2
        .value_kind:     hidden_grid_dims
      - .offset:         184
        .size:           4
        .value_kind:     hidden_dynamic_lds_size
    .group_segment_fixed_size: 0
    .kernarg_segment_align: 8
    .kernarg_segment_size: 320
    .language:       OpenCL C
    .language_version:
      - 2
      - 0
    .max_flat_workgroup_size: 1024
    .name:           _ZN2at6native12_GLOBAL__N_126adaptive_average_pool_nhwcIiN3c108BFloat16EEEvPKT0_PS5_iiiiiiiiT_S9_S9_S9_
    .private_segment_fixed_size: 0
    .sgpr_count:     37
    .sgpr_spill_count: 0
    .symbol:         _ZN2at6native12_GLOBAL__N_126adaptive_average_pool_nhwcIiN3c108BFloat16EEEvPKT0_PS5_iiiiiiiiT_S9_S9_S9_.kd
    .uniform_work_group_size: 1
    .uses_dynamic_stack: false
    .vgpr_count:     29
    .vgpr_spill_count: 0
    .wavefront_size: 32
    .workgroup_processor_mode: 1
  - .args:
      - .address_space:  global
        .offset:         0
        .size:           8
        .value_kind:     global_buffer
      - .address_space:  global
        .offset:         8
        .size:           8
        .value_kind:     global_buffer
      - .offset:         16
        .size:           4
        .value_kind:     by_value
      - .offset:         20
        .size:           4
        .value_kind:     by_value
      - .offset:         24
        .size:           4
        .value_kind:     by_value
      - .offset:         28
        .size:           4
        .value_kind:     by_value
      - .offset:         32
        .size:           8
        .value_kind:     by_value
      - .offset:         40
        .size:           8
        .value_kind:     by_value
      - .offset:         48
        .size:           8
        .value_kind:     by_value
      - .offset:         56
        .size:           4
        .value_kind:     hidden_block_count_x
      - .offset:         60
        .size:           4
        .value_kind:     hidden_block_count_y
      - .offset:         64
        .size:           4
        .value_kind:     hidden_block_count_z
      - .offset:         68
        .size:           2
        .value_kind:     hidden_group_size_x
      - .offset:         70
        .size:           2
        .value_kind:     hidden_group_size_y
      - .offset:         72
        .size:           2
        .value_kind:     hidden_group_size_z
      - .offset:         74
        .size:           2
        .value_kind:     hidden_remainder_x
      - .offset:         76
        .size:           2
        .value_kind:     hidden_remainder_y
      - .offset:         78
        .size:           2
        .value_kind:     hidden_remainder_z
      - .offset:         96
        .size:           8
        .value_kind:     hidden_global_offset_x
      - .offset:         104
        .size:           8
        .value_kind:     hidden_global_offset_y
      - .offset:         112
        .size:           8
        .value_kind:     hidden_global_offset_z
      - .offset:         120
        .size:           2
        .value_kind:     hidden_grid_dims
    .group_segment_fixed_size: 0
    .kernarg_segment_align: 8
    .kernarg_segment_size: 312
    .language:       OpenCL C
    .language_version:
      - 2
      - 0
    .max_flat_workgroup_size: 1024
    .name:           _ZN2at6native12_GLOBAL__N_121adaptive_average_poolIdEEvPKT_PS3_iiiilll
    .private_segment_fixed_size: 0
    .sgpr_count:     38
    .sgpr_spill_count: 0
    .symbol:         _ZN2at6native12_GLOBAL__N_121adaptive_average_poolIdEEvPKT_PS3_iiiilll.kd
    .uniform_work_group_size: 1
    .uses_dynamic_stack: false
    .vgpr_count:     26
    .vgpr_spill_count: 0
    .wavefront_size: 32
    .workgroup_processor_mode: 1
  - .args:
      - .address_space:  global
        .offset:         0
        .size:           8
        .value_kind:     global_buffer
      - .address_space:  global
        .offset:         8
        .size:           8
        .value_kind:     global_buffer
      - .offset:         16
        .size:           4
        .value_kind:     by_value
      - .offset:         20
        .size:           4
        .value_kind:     by_value
      - .offset:         24
        .size:           4
        .value_kind:     by_value
      - .offset:         28
        .size:           4
        .value_kind:     by_value
      - .offset:         32
        .size:           8
        .value_kind:     by_value
      - .offset:         40
        .size:           8
        .value_kind:     by_value
      - .offset:         48
        .size:           8
        .value_kind:     by_value
      - .offset:         56
        .size:           4
        .value_kind:     hidden_block_count_x
      - .offset:         60
        .size:           4
        .value_kind:     hidden_block_count_y
      - .offset:         64
        .size:           4
        .value_kind:     hidden_block_count_z
      - .offset:         68
        .size:           2
        .value_kind:     hidden_group_size_x
      - .offset:         70
        .size:           2
        .value_kind:     hidden_group_size_y
      - .offset:         72
        .size:           2
        .value_kind:     hidden_group_size_z
      - .offset:         74
        .size:           2
        .value_kind:     hidden_remainder_x
      - .offset:         76
        .size:           2
        .value_kind:     hidden_remainder_y
      - .offset:         78
        .size:           2
        .value_kind:     hidden_remainder_z
      - .offset:         96
        .size:           8
        .value_kind:     hidden_global_offset_x
      - .offset:         104
        .size:           8
        .value_kind:     hidden_global_offset_y
      - .offset:         112
        .size:           8
        .value_kind:     hidden_global_offset_z
      - .offset:         120
        .size:           2
        .value_kind:     hidden_grid_dims
    .group_segment_fixed_size: 0
    .kernarg_segment_align: 8
    .kernarg_segment_size: 312
    .language:       OpenCL C
    .language_version:
      - 2
      - 0
    .max_flat_workgroup_size: 1024
    .name:           _ZN2at6native12_GLOBAL__N_121adaptive_average_poolIfEEvPKT_PS3_iiiilll
    .private_segment_fixed_size: 0
    .sgpr_count:     38
    .sgpr_spill_count: 0
    .symbol:         _ZN2at6native12_GLOBAL__N_121adaptive_average_poolIfEEvPKT_PS3_iiiilll.kd
    .uniform_work_group_size: 1
    .uses_dynamic_stack: false
    .vgpr_count:     25
    .vgpr_spill_count: 0
    .wavefront_size: 32
    .workgroup_processor_mode: 1
  - .args:
      - .address_space:  global
        .offset:         0
        .size:           8
        .value_kind:     global_buffer
      - .address_space:  global
        .offset:         8
        .size:           8
        .value_kind:     global_buffer
      - .offset:         16
        .size:           4
        .value_kind:     by_value
      - .offset:         20
        .size:           4
        .value_kind:     by_value
      - .offset:         24
        .size:           4
        .value_kind:     by_value
      - .offset:         28
        .size:           4
        .value_kind:     by_value
      - .offset:         32
        .size:           8
        .value_kind:     by_value
      - .offset:         40
        .size:           8
        .value_kind:     by_value
      - .offset:         48
        .size:           8
        .value_kind:     by_value
      - .offset:         56
        .size:           4
        .value_kind:     hidden_block_count_x
      - .offset:         60
        .size:           4
        .value_kind:     hidden_block_count_y
      - .offset:         64
        .size:           4
        .value_kind:     hidden_block_count_z
      - .offset:         68
        .size:           2
        .value_kind:     hidden_group_size_x
      - .offset:         70
        .size:           2
        .value_kind:     hidden_group_size_y
      - .offset:         72
        .size:           2
        .value_kind:     hidden_group_size_z
      - .offset:         74
        .size:           2
        .value_kind:     hidden_remainder_x
      - .offset:         76
        .size:           2
        .value_kind:     hidden_remainder_y
      - .offset:         78
        .size:           2
        .value_kind:     hidden_remainder_z
      - .offset:         96
        .size:           8
        .value_kind:     hidden_global_offset_x
      - .offset:         104
        .size:           8
        .value_kind:     hidden_global_offset_y
      - .offset:         112
        .size:           8
        .value_kind:     hidden_global_offset_z
      - .offset:         120
        .size:           2
        .value_kind:     hidden_grid_dims
    .group_segment_fixed_size: 0
    .kernarg_segment_align: 8
    .kernarg_segment_size: 312
    .language:       OpenCL C
    .language_version:
      - 2
      - 0
    .max_flat_workgroup_size: 1024
    .name:           _ZN2at6native12_GLOBAL__N_121adaptive_average_poolIN3c104HalfEEEvPKT_PS5_iiiilll
    .private_segment_fixed_size: 0
    .sgpr_count:     38
    .sgpr_spill_count: 0
    .symbol:         _ZN2at6native12_GLOBAL__N_121adaptive_average_poolIN3c104HalfEEEvPKT_PS5_iiiilll.kd
    .uniform_work_group_size: 1
    .uses_dynamic_stack: false
    .vgpr_count:     25
    .vgpr_spill_count: 0
    .wavefront_size: 32
    .workgroup_processor_mode: 1
  - .args:
      - .address_space:  global
        .offset:         0
        .size:           8
        .value_kind:     global_buffer
      - .address_space:  global
        .offset:         8
        .size:           8
        .value_kind:     global_buffer
      - .offset:         16
        .size:           4
        .value_kind:     by_value
      - .offset:         20
        .size:           4
        .value_kind:     by_value
      - .offset:         24
        .size:           4
        .value_kind:     by_value
      - .offset:         28
        .size:           4
        .value_kind:     by_value
      - .offset:         32
        .size:           8
        .value_kind:     by_value
      - .offset:         40
        .size:           8
        .value_kind:     by_value
      - .offset:         48
        .size:           8
        .value_kind:     by_value
      - .offset:         56
        .size:           4
        .value_kind:     hidden_block_count_x
      - .offset:         60
        .size:           4
        .value_kind:     hidden_block_count_y
      - .offset:         64
        .size:           4
        .value_kind:     hidden_block_count_z
      - .offset:         68
        .size:           2
        .value_kind:     hidden_group_size_x
      - .offset:         70
        .size:           2
        .value_kind:     hidden_group_size_y
      - .offset:         72
        .size:           2
        .value_kind:     hidden_group_size_z
      - .offset:         74
        .size:           2
        .value_kind:     hidden_remainder_x
      - .offset:         76
        .size:           2
        .value_kind:     hidden_remainder_y
      - .offset:         78
        .size:           2
        .value_kind:     hidden_remainder_z
      - .offset:         96
        .size:           8
        .value_kind:     hidden_global_offset_x
      - .offset:         104
        .size:           8
        .value_kind:     hidden_global_offset_y
      - .offset:         112
        .size:           8
        .value_kind:     hidden_global_offset_z
      - .offset:         120
        .size:           2
        .value_kind:     hidden_grid_dims
    .group_segment_fixed_size: 0
    .kernarg_segment_align: 8
    .kernarg_segment_size: 312
    .language:       OpenCL C
    .language_version:
      - 2
      - 0
    .max_flat_workgroup_size: 1024
    .name:           _ZN2at6native12_GLOBAL__N_121adaptive_average_poolIN3c108BFloat16EEEvPKT_PS5_iiiilll
    .private_segment_fixed_size: 0
    .sgpr_count:     38
    .sgpr_spill_count: 0
    .symbol:         _ZN2at6native12_GLOBAL__N_121adaptive_average_poolIN3c108BFloat16EEEvPKT_PS5_iiiilll.kd
    .uniform_work_group_size: 1
    .uses_dynamic_stack: false
    .vgpr_count:     25
    .vgpr_spill_count: 0
    .wavefront_size: 32
    .workgroup_processor_mode: 1
  - .args:
      - .actual_access:  write_only
        .address_space:  global
        .offset:         0
        .size:           8
        .value_kind:     global_buffer
      - .actual_access:  read_only
        .address_space:  global
        .offset:         8
        .size:           8
        .value_kind:     global_buffer
      - .offset:         16
        .size:           4
        .value_kind:     by_value
      - .offset:         20
        .size:           4
        .value_kind:     by_value
      - .offset:         24
        .size:           4
        .value_kind:     by_value
      - .offset:         28
        .size:           4
        .value_kind:     by_value
      - .offset:         32
        .size:           4
        .value_kind:     by_value
      - .offset:         36
        .size:           4
        .value_kind:     by_value
      - .offset:         40
        .size:           4
        .value_kind:     by_value
      - .offset:         44
        .size:           4
        .value_kind:     by_value
      - .offset:         48
        .size:           4
        .value_kind:     by_value
      - .offset:         52
        .size:           4
        .value_kind:     by_value
      - .offset:         56
        .size:           4
        .value_kind:     by_value
      - .offset:         60
        .size:           4
        .value_kind:     by_value
      - .offset:         64
        .size:           4
        .value_kind:     hidden_block_count_x
      - .offset:         68
        .size:           4
        .value_kind:     hidden_block_count_y
      - .offset:         72
        .size:           4
        .value_kind:     hidden_block_count_z
      - .offset:         76
        .size:           2
        .value_kind:     hidden_group_size_x
      - .offset:         78
        .size:           2
        .value_kind:     hidden_group_size_y
      - .offset:         80
        .size:           2
        .value_kind:     hidden_group_size_z
      - .offset:         82
        .size:           2
        .value_kind:     hidden_remainder_x
      - .offset:         84
        .size:           2
        .value_kind:     hidden_remainder_y
      - .offset:         86
        .size:           2
        .value_kind:     hidden_remainder_z
      - .offset:         104
        .size:           8
        .value_kind:     hidden_global_offset_x
      - .offset:         112
        .size:           8
        .value_kind:     hidden_global_offset_y
      - .offset:         120
        .size:           8
        .value_kind:     hidden_global_offset_z
      - .offset:         128
        .size:           2
        .value_kind:     hidden_grid_dims
      - .offset:         184
        .size:           4
        .value_kind:     hidden_dynamic_lds_size
    .group_segment_fixed_size: 0
    .kernarg_segment_align: 8
    .kernarg_segment_size: 320
    .language:       OpenCL C
    .language_version:
      - 2
      - 0
    .max_flat_workgroup_size: 1024
    .name:           _ZN2at6native12_GLOBAL__N_131adaptive_average_gradinput_nhwcIidEEvPT0_PKS3_iiiiiiiiT_S7_S7_S7_
    .private_segment_fixed_size: 0
    .sgpr_count:     37
    .sgpr_spill_count: 0
    .symbol:         _ZN2at6native12_GLOBAL__N_131adaptive_average_gradinput_nhwcIidEEvPT0_PKS3_iiiiiiiiT_S7_S7_S7_.kd
    .uniform_work_group_size: 1
    .uses_dynamic_stack: false
    .vgpr_count:     33
    .vgpr_spill_count: 0
    .wavefront_size: 32
    .workgroup_processor_mode: 1
  - .args:
      - .actual_access:  write_only
        .address_space:  global
        .offset:         0
        .size:           8
        .value_kind:     global_buffer
      - .actual_access:  read_only
        .address_space:  global
        .offset:         8
        .size:           8
        .value_kind:     global_buffer
      - .offset:         16
        .size:           4
        .value_kind:     by_value
      - .offset:         20
        .size:           4
        .value_kind:     by_value
      - .offset:         24
        .size:           4
        .value_kind:     by_value
      - .offset:         28
        .size:           4
        .value_kind:     by_value
      - .offset:         32
        .size:           4
        .value_kind:     by_value
      - .offset:         36
        .size:           4
        .value_kind:     by_value
      - .offset:         40
        .size:           4
        .value_kind:     by_value
      - .offset:         44
        .size:           4
        .value_kind:     by_value
      - .offset:         48
        .size:           4
        .value_kind:     by_value
      - .offset:         52
        .size:           4
        .value_kind:     by_value
      - .offset:         56
        .size:           4
        .value_kind:     by_value
      - .offset:         60
        .size:           4
        .value_kind:     by_value
      - .offset:         64
        .size:           4
        .value_kind:     hidden_block_count_x
      - .offset:         68
        .size:           4
        .value_kind:     hidden_block_count_y
      - .offset:         72
        .size:           4
        .value_kind:     hidden_block_count_z
      - .offset:         76
        .size:           2
        .value_kind:     hidden_group_size_x
      - .offset:         78
        .size:           2
        .value_kind:     hidden_group_size_y
      - .offset:         80
        .size:           2
        .value_kind:     hidden_group_size_z
      - .offset:         82
        .size:           2
        .value_kind:     hidden_remainder_x
      - .offset:         84
        .size:           2
        .value_kind:     hidden_remainder_y
      - .offset:         86
        .size:           2
        .value_kind:     hidden_remainder_z
      - .offset:         104
        .size:           8
        .value_kind:     hidden_global_offset_x
      - .offset:         112
        .size:           8
        .value_kind:     hidden_global_offset_y
      - .offset:         120
        .size:           8
        .value_kind:     hidden_global_offset_z
      - .offset:         128
        .size:           2
        .value_kind:     hidden_grid_dims
      - .offset:         184
        .size:           4
        .value_kind:     hidden_dynamic_lds_size
    .group_segment_fixed_size: 0
    .kernarg_segment_align: 8
    .kernarg_segment_size: 320
    .language:       OpenCL C
    .language_version:
      - 2
      - 0
    .max_flat_workgroup_size: 1024
    .name:           _ZN2at6native12_GLOBAL__N_131adaptive_average_gradinput_nhwcIifEEvPT0_PKS3_iiiiiiiiT_S7_S7_S7_
    .private_segment_fixed_size: 0
    .sgpr_count:     37
    .sgpr_spill_count: 0
    .symbol:         _ZN2at6native12_GLOBAL__N_131adaptive_average_gradinput_nhwcIifEEvPT0_PKS3_iiiiiiiiT_S7_S7_S7_.kd
    .uniform_work_group_size: 1
    .uses_dynamic_stack: false
    .vgpr_count:     29
    .vgpr_spill_count: 0
    .wavefront_size: 32
    .workgroup_processor_mode: 1
  - .args:
      - .actual_access:  write_only
        .address_space:  global
        .offset:         0
        .size:           8
        .value_kind:     global_buffer
      - .actual_access:  read_only
        .address_space:  global
        .offset:         8
        .size:           8
        .value_kind:     global_buffer
      - .offset:         16
        .size:           4
        .value_kind:     by_value
      - .offset:         20
        .size:           4
        .value_kind:     by_value
      - .offset:         24
        .size:           4
        .value_kind:     by_value
      - .offset:         28
        .size:           4
        .value_kind:     by_value
      - .offset:         32
        .size:           4
        .value_kind:     by_value
      - .offset:         36
        .size:           4
        .value_kind:     by_value
      - .offset:         40
        .size:           4
        .value_kind:     by_value
      - .offset:         44
        .size:           4
        .value_kind:     by_value
      - .offset:         48
        .size:           4
        .value_kind:     by_value
      - .offset:         52
        .size:           4
        .value_kind:     by_value
      - .offset:         56
        .size:           4
        .value_kind:     by_value
      - .offset:         60
        .size:           4
        .value_kind:     by_value
      - .offset:         64
        .size:           4
        .value_kind:     hidden_block_count_x
      - .offset:         68
        .size:           4
        .value_kind:     hidden_block_count_y
      - .offset:         72
        .size:           4
        .value_kind:     hidden_block_count_z
      - .offset:         76
        .size:           2
        .value_kind:     hidden_group_size_x
      - .offset:         78
        .size:           2
        .value_kind:     hidden_group_size_y
      - .offset:         80
        .size:           2
        .value_kind:     hidden_group_size_z
      - .offset:         82
        .size:           2
        .value_kind:     hidden_remainder_x
      - .offset:         84
        .size:           2
        .value_kind:     hidden_remainder_y
      - .offset:         86
        .size:           2
        .value_kind:     hidden_remainder_z
      - .offset:         104
        .size:           8
        .value_kind:     hidden_global_offset_x
      - .offset:         112
        .size:           8
        .value_kind:     hidden_global_offset_y
      - .offset:         120
        .size:           8
        .value_kind:     hidden_global_offset_z
      - .offset:         128
        .size:           2
        .value_kind:     hidden_grid_dims
      - .offset:         184
        .size:           4
        .value_kind:     hidden_dynamic_lds_size
    .group_segment_fixed_size: 0
    .kernarg_segment_align: 8
    .kernarg_segment_size: 320
    .language:       OpenCL C
    .language_version:
      - 2
      - 0
    .max_flat_workgroup_size: 1024
    .name:           _ZN2at6native12_GLOBAL__N_131adaptive_average_gradinput_nhwcIiN3c104HalfEEEvPT0_PKS5_iiiiiiiiT_S9_S9_S9_
    .private_segment_fixed_size: 0
    .sgpr_count:     45
    .sgpr_spill_count: 0
    .symbol:         _ZN2at6native12_GLOBAL__N_131adaptive_average_gradinput_nhwcIiN3c104HalfEEEvPT0_PKS5_iiiiiiiiT_S9_S9_S9_.kd
    .uniform_work_group_size: 1
    .uses_dynamic_stack: false
    .vgpr_count:     35
    .vgpr_spill_count: 0
    .wavefront_size: 32
    .workgroup_processor_mode: 1
  - .args:
      - .actual_access:  write_only
        .address_space:  global
        .offset:         0
        .size:           8
        .value_kind:     global_buffer
      - .actual_access:  read_only
        .address_space:  global
        .offset:         8
        .size:           8
        .value_kind:     global_buffer
      - .offset:         16
        .size:           4
        .value_kind:     by_value
      - .offset:         20
        .size:           4
        .value_kind:     by_value
      - .offset:         24
        .size:           4
        .value_kind:     by_value
      - .offset:         28
        .size:           4
        .value_kind:     by_value
      - .offset:         32
        .size:           4
        .value_kind:     by_value
      - .offset:         36
        .size:           4
        .value_kind:     by_value
      - .offset:         40
        .size:           4
        .value_kind:     by_value
      - .offset:         44
        .size:           4
        .value_kind:     by_value
      - .offset:         48
        .size:           4
        .value_kind:     by_value
      - .offset:         52
        .size:           4
        .value_kind:     by_value
      - .offset:         56
        .size:           4
        .value_kind:     by_value
      - .offset:         60
        .size:           4
        .value_kind:     by_value
      - .offset:         64
        .size:           4
        .value_kind:     hidden_block_count_x
      - .offset:         68
        .size:           4
        .value_kind:     hidden_block_count_y
      - .offset:         72
        .size:           4
        .value_kind:     hidden_block_count_z
      - .offset:         76
        .size:           2
        .value_kind:     hidden_group_size_x
      - .offset:         78
        .size:           2
        .value_kind:     hidden_group_size_y
      - .offset:         80
        .size:           2
        .value_kind:     hidden_group_size_z
      - .offset:         82
        .size:           2
        .value_kind:     hidden_remainder_x
      - .offset:         84
        .size:           2
        .value_kind:     hidden_remainder_y
      - .offset:         86
        .size:           2
        .value_kind:     hidden_remainder_z
      - .offset:         104
        .size:           8
        .value_kind:     hidden_global_offset_x
      - .offset:         112
        .size:           8
        .value_kind:     hidden_global_offset_y
      - .offset:         120
        .size:           8
        .value_kind:     hidden_global_offset_z
      - .offset:         128
        .size:           2
        .value_kind:     hidden_grid_dims
      - .offset:         184
        .size:           4
        .value_kind:     hidden_dynamic_lds_size
    .group_segment_fixed_size: 0
    .kernarg_segment_align: 8
    .kernarg_segment_size: 320
    .language:       OpenCL C
    .language_version:
      - 2
      - 0
    .max_flat_workgroup_size: 1024
    .name:           _ZN2at6native12_GLOBAL__N_131adaptive_average_gradinput_nhwcIiN3c108BFloat16EEEvPT0_PKS5_iiiiiiiiT_S9_S9_S9_
    .private_segment_fixed_size: 0
    .sgpr_count:     45
    .sgpr_spill_count: 0
    .symbol:         _ZN2at6native12_GLOBAL__N_131adaptive_average_gradinput_nhwcIiN3c108BFloat16EEEvPT0_PKS5_iiiiiiiiT_S9_S9_S9_.kd
    .uniform_work_group_size: 1
    .uses_dynamic_stack: false
    .vgpr_count:     35
    .vgpr_spill_count: 0
    .wavefront_size: 32
    .workgroup_processor_mode: 1
  - .args:
      - .address_space:  global
        .offset:         0
        .size:           8
        .value_kind:     global_buffer
      - .address_space:  global
        .offset:         8
        .size:           8
        .value_kind:     global_buffer
      - .offset:         16
        .size:           4
        .value_kind:     by_value
      - .offset:         20
        .size:           4
        .value_kind:     by_value
      - .offset:         24
        .size:           4
        .value_kind:     by_value
      - .offset:         28
        .size:           4
        .value_kind:     by_value
      - .offset:         32
        .size:           4
        .value_kind:     hidden_block_count_x
      - .offset:         36
        .size:           4
        .value_kind:     hidden_block_count_y
      - .offset:         40
        .size:           4
        .value_kind:     hidden_block_count_z
      - .offset:         44
        .size:           2
        .value_kind:     hidden_group_size_x
      - .offset:         46
        .size:           2
        .value_kind:     hidden_group_size_y
      - .offset:         48
        .size:           2
        .value_kind:     hidden_group_size_z
      - .offset:         50
        .size:           2
        .value_kind:     hidden_remainder_x
      - .offset:         52
        .size:           2
        .value_kind:     hidden_remainder_y
      - .offset:         54
        .size:           2
        .value_kind:     hidden_remainder_z
      - .offset:         72
        .size:           8
        .value_kind:     hidden_global_offset_x
      - .offset:         80
        .size:           8
        .value_kind:     hidden_global_offset_y
      - .offset:         88
        .size:           8
        .value_kind:     hidden_global_offset_z
      - .offset:         96
        .size:           2
        .value_kind:     hidden_grid_dims
    .group_segment_fixed_size: 0
    .kernarg_segment_align: 8
    .kernarg_segment_size: 288
    .language:       OpenCL C
    .language_version:
      - 2
      - 0
    .max_flat_workgroup_size: 1024
    .name:           _ZN2at6native12_GLOBAL__N_133atomic_adaptive_average_gradinputIdEEvPT_PKS3_iiii
    .private_segment_fixed_size: 0
    .sgpr_count:     38
    .sgpr_spill_count: 0
    .symbol:         _ZN2at6native12_GLOBAL__N_133atomic_adaptive_average_gradinputIdEEvPT_PKS3_iiii.kd
    .uniform_work_group_size: 1
    .uses_dynamic_stack: false
    .vgpr_count:     30
    .vgpr_spill_count: 0
    .wavefront_size: 32
    .workgroup_processor_mode: 1
  - .args:
      - .address_space:  global
        .offset:         0
        .size:           8
        .value_kind:     global_buffer
      - .address_space:  global
        .offset:         8
        .size:           8
        .value_kind:     global_buffer
      - .offset:         16
        .size:           4
        .value_kind:     by_value
      - .offset:         20
        .size:           4
        .value_kind:     by_value
      - .offset:         24
        .size:           4
        .value_kind:     by_value
      - .offset:         28
        .size:           4
        .value_kind:     by_value
      - .offset:         32
        .size:           4
        .value_kind:     hidden_block_count_x
      - .offset:         36
        .size:           4
        .value_kind:     hidden_block_count_y
      - .offset:         40
        .size:           4
        .value_kind:     hidden_block_count_z
      - .offset:         44
        .size:           2
        .value_kind:     hidden_group_size_x
      - .offset:         46
        .size:           2
        .value_kind:     hidden_group_size_y
      - .offset:         48
        .size:           2
        .value_kind:     hidden_group_size_z
      - .offset:         50
        .size:           2
        .value_kind:     hidden_remainder_x
      - .offset:         52
        .size:           2
        .value_kind:     hidden_remainder_y
      - .offset:         54
        .size:           2
        .value_kind:     hidden_remainder_z
      - .offset:         72
        .size:           8
        .value_kind:     hidden_global_offset_x
      - .offset:         80
        .size:           8
        .value_kind:     hidden_global_offset_y
      - .offset:         88
        .size:           8
        .value_kind:     hidden_global_offset_z
      - .offset:         96
        .size:           2
        .value_kind:     hidden_grid_dims
    .group_segment_fixed_size: 0
    .kernarg_segment_align: 8
    .kernarg_segment_size: 288
    .language:       OpenCL C
    .language_version:
      - 2
      - 0
    .max_flat_workgroup_size: 1024
    .name:           _ZN2at6native12_GLOBAL__N_126adaptive_average_gradinputIdEEvPT_PKS3_iiii
    .private_segment_fixed_size: 0
    .sgpr_count:     42
    .sgpr_spill_count: 0
    .symbol:         _ZN2at6native12_GLOBAL__N_126adaptive_average_gradinputIdEEvPT_PKS3_iiii.kd
    .uniform_work_group_size: 1
    .uses_dynamic_stack: false
    .vgpr_count:     42
    .vgpr_spill_count: 0
    .wavefront_size: 32
    .workgroup_processor_mode: 1
  - .args:
      - .address_space:  global
        .offset:         0
        .size:           8
        .value_kind:     global_buffer
      - .address_space:  global
        .offset:         8
        .size:           8
        .value_kind:     global_buffer
      - .offset:         16
        .size:           4
        .value_kind:     by_value
      - .offset:         20
        .size:           4
        .value_kind:     by_value
      - .offset:         24
        .size:           4
        .value_kind:     by_value
      - .offset:         28
        .size:           4
        .value_kind:     by_value
      - .offset:         32
        .size:           4
        .value_kind:     hidden_block_count_x
      - .offset:         36
        .size:           4
        .value_kind:     hidden_block_count_y
      - .offset:         40
        .size:           4
        .value_kind:     hidden_block_count_z
      - .offset:         44
        .size:           2
        .value_kind:     hidden_group_size_x
      - .offset:         46
        .size:           2
        .value_kind:     hidden_group_size_y
      - .offset:         48
        .size:           2
        .value_kind:     hidden_group_size_z
      - .offset:         50
        .size:           2
        .value_kind:     hidden_remainder_x
      - .offset:         52
        .size:           2
        .value_kind:     hidden_remainder_y
      - .offset:         54
        .size:           2
        .value_kind:     hidden_remainder_z
      - .offset:         72
        .size:           8
        .value_kind:     hidden_global_offset_x
      - .offset:         80
        .size:           8
        .value_kind:     hidden_global_offset_y
      - .offset:         88
        .size:           8
        .value_kind:     hidden_global_offset_z
      - .offset:         96
        .size:           2
        .value_kind:     hidden_grid_dims
    .group_segment_fixed_size: 0
    .kernarg_segment_align: 8
    .kernarg_segment_size: 288
    .language:       OpenCL C
    .language_version:
      - 2
      - 0
    .max_flat_workgroup_size: 1024
    .name:           _ZN2at6native12_GLOBAL__N_133atomic_adaptive_average_gradinputIfEEvPT_PKS3_iiii
    .private_segment_fixed_size: 0
    .sgpr_count:     38
    .sgpr_spill_count: 0
    .symbol:         _ZN2at6native12_GLOBAL__N_133atomic_adaptive_average_gradinputIfEEvPT_PKS3_iiii.kd
    .uniform_work_group_size: 1
    .uses_dynamic_stack: false
    .vgpr_count:     25
    .vgpr_spill_count: 0
    .wavefront_size: 32
    .workgroup_processor_mode: 1
  - .args:
      - .address_space:  global
        .offset:         0
        .size:           8
        .value_kind:     global_buffer
      - .address_space:  global
        .offset:         8
        .size:           8
        .value_kind:     global_buffer
      - .offset:         16
        .size:           4
        .value_kind:     by_value
      - .offset:         20
        .size:           4
        .value_kind:     by_value
      - .offset:         24
        .size:           4
        .value_kind:     by_value
      - .offset:         28
        .size:           4
        .value_kind:     by_value
      - .offset:         32
        .size:           4
        .value_kind:     hidden_block_count_x
      - .offset:         36
        .size:           4
        .value_kind:     hidden_block_count_y
      - .offset:         40
        .size:           4
        .value_kind:     hidden_block_count_z
      - .offset:         44
        .size:           2
        .value_kind:     hidden_group_size_x
      - .offset:         46
        .size:           2
        .value_kind:     hidden_group_size_y
      - .offset:         48
        .size:           2
        .value_kind:     hidden_group_size_z
      - .offset:         50
        .size:           2
        .value_kind:     hidden_remainder_x
      - .offset:         52
        .size:           2
        .value_kind:     hidden_remainder_y
      - .offset:         54
        .size:           2
        .value_kind:     hidden_remainder_z
      - .offset:         72
        .size:           8
        .value_kind:     hidden_global_offset_x
      - .offset:         80
        .size:           8
        .value_kind:     hidden_global_offset_y
      - .offset:         88
        .size:           8
        .value_kind:     hidden_global_offset_z
      - .offset:         96
        .size:           2
        .value_kind:     hidden_grid_dims
    .group_segment_fixed_size: 0
    .kernarg_segment_align: 8
    .kernarg_segment_size: 288
    .language:       OpenCL C
    .language_version:
      - 2
      - 0
    .max_flat_workgroup_size: 1024
    .name:           _ZN2at6native12_GLOBAL__N_126adaptive_average_gradinputIfEEvPT_PKS3_iiii
    .private_segment_fixed_size: 0
    .sgpr_count:     42
    .sgpr_spill_count: 0
    .symbol:         _ZN2at6native12_GLOBAL__N_126adaptive_average_gradinputIfEEvPT_PKS3_iiii.kd
    .uniform_work_group_size: 1
    .uses_dynamic_stack: false
    .vgpr_count:     37
    .vgpr_spill_count: 0
    .wavefront_size: 32
    .workgroup_processor_mode: 1
  - .args:
      - .address_space:  global
        .offset:         0
        .size:           8
        .value_kind:     global_buffer
      - .address_space:  global
        .offset:         8
        .size:           8
        .value_kind:     global_buffer
      - .offset:         16
        .size:           4
        .value_kind:     by_value
      - .offset:         20
        .size:           4
        .value_kind:     by_value
      - .offset:         24
        .size:           4
        .value_kind:     by_value
      - .offset:         28
        .size:           4
        .value_kind:     by_value
      - .offset:         32
        .size:           4
        .value_kind:     hidden_block_count_x
      - .offset:         36
        .size:           4
        .value_kind:     hidden_block_count_y
      - .offset:         40
        .size:           4
        .value_kind:     hidden_block_count_z
      - .offset:         44
        .size:           2
        .value_kind:     hidden_group_size_x
      - .offset:         46
        .size:           2
        .value_kind:     hidden_group_size_y
      - .offset:         48
        .size:           2
        .value_kind:     hidden_group_size_z
      - .offset:         50
        .size:           2
        .value_kind:     hidden_remainder_x
      - .offset:         52
        .size:           2
        .value_kind:     hidden_remainder_y
      - .offset:         54
        .size:           2
        .value_kind:     hidden_remainder_z
      - .offset:         72
        .size:           8
        .value_kind:     hidden_global_offset_x
      - .offset:         80
        .size:           8
        .value_kind:     hidden_global_offset_y
      - .offset:         88
        .size:           8
        .value_kind:     hidden_global_offset_z
      - .offset:         96
        .size:           2
        .value_kind:     hidden_grid_dims
    .group_segment_fixed_size: 0
    .kernarg_segment_align: 8
    .kernarg_segment_size: 288
    .language:       OpenCL C
    .language_version:
      - 2
      - 0
    .max_flat_workgroup_size: 1024
    .name:           _ZN2at6native12_GLOBAL__N_133atomic_adaptive_average_gradinputIN3c104HalfEEEvPT_PKS5_iiii
    .private_segment_fixed_size: 0
    .sgpr_count:     38
    .sgpr_spill_count: 0
    .symbol:         _ZN2at6native12_GLOBAL__N_133atomic_adaptive_average_gradinputIN3c104HalfEEEvPT_PKS5_iiii.kd
    .uniform_work_group_size: 1
    .uses_dynamic_stack: false
    .vgpr_count:     25
    .vgpr_spill_count: 0
    .wavefront_size: 32
    .workgroup_processor_mode: 1
  - .args:
      - .address_space:  global
        .offset:         0
        .size:           8
        .value_kind:     global_buffer
      - .address_space:  global
        .offset:         8
        .size:           8
        .value_kind:     global_buffer
      - .offset:         16
        .size:           4
        .value_kind:     by_value
      - .offset:         20
        .size:           4
        .value_kind:     by_value
      - .offset:         24
        .size:           4
        .value_kind:     by_value
      - .offset:         28
        .size:           4
        .value_kind:     by_value
      - .offset:         32
        .size:           4
        .value_kind:     hidden_block_count_x
      - .offset:         36
        .size:           4
        .value_kind:     hidden_block_count_y
      - .offset:         40
        .size:           4
        .value_kind:     hidden_block_count_z
      - .offset:         44
        .size:           2
        .value_kind:     hidden_group_size_x
      - .offset:         46
        .size:           2
        .value_kind:     hidden_group_size_y
      - .offset:         48
        .size:           2
        .value_kind:     hidden_group_size_z
      - .offset:         50
        .size:           2
        .value_kind:     hidden_remainder_x
      - .offset:         52
        .size:           2
        .value_kind:     hidden_remainder_y
      - .offset:         54
        .size:           2
        .value_kind:     hidden_remainder_z
      - .offset:         72
        .size:           8
        .value_kind:     hidden_global_offset_x
      - .offset:         80
        .size:           8
        .value_kind:     hidden_global_offset_y
      - .offset:         88
        .size:           8
        .value_kind:     hidden_global_offset_z
      - .offset:         96
        .size:           2
        .value_kind:     hidden_grid_dims
    .group_segment_fixed_size: 0
    .kernarg_segment_align: 8
    .kernarg_segment_size: 288
    .language:       OpenCL C
    .language_version:
      - 2
      - 0
    .max_flat_workgroup_size: 1024
    .name:           _ZN2at6native12_GLOBAL__N_126adaptive_average_gradinputIN3c104HalfEEEvPT_PKS5_iiii
    .private_segment_fixed_size: 0
    .sgpr_count:     42
    .sgpr_spill_count: 0
    .symbol:         _ZN2at6native12_GLOBAL__N_126adaptive_average_gradinputIN3c104HalfEEEvPT_PKS5_iiii.kd
    .uniform_work_group_size: 1
    .uses_dynamic_stack: false
    .vgpr_count:     37
    .vgpr_spill_count: 0
    .wavefront_size: 32
    .workgroup_processor_mode: 1
  - .args:
      - .address_space:  global
        .offset:         0
        .size:           8
        .value_kind:     global_buffer
      - .address_space:  global
        .offset:         8
        .size:           8
        .value_kind:     global_buffer
      - .offset:         16
        .size:           4
        .value_kind:     by_value
      - .offset:         20
        .size:           4
        .value_kind:     by_value
      - .offset:         24
        .size:           4
        .value_kind:     by_value
      - .offset:         28
        .size:           4
        .value_kind:     by_value
      - .offset:         32
        .size:           4
        .value_kind:     hidden_block_count_x
      - .offset:         36
        .size:           4
        .value_kind:     hidden_block_count_y
      - .offset:         40
        .size:           4
        .value_kind:     hidden_block_count_z
      - .offset:         44
        .size:           2
        .value_kind:     hidden_group_size_x
      - .offset:         46
        .size:           2
        .value_kind:     hidden_group_size_y
      - .offset:         48
        .size:           2
        .value_kind:     hidden_group_size_z
      - .offset:         50
        .size:           2
        .value_kind:     hidden_remainder_x
      - .offset:         52
        .size:           2
        .value_kind:     hidden_remainder_y
      - .offset:         54
        .size:           2
        .value_kind:     hidden_remainder_z
      - .offset:         72
        .size:           8
        .value_kind:     hidden_global_offset_x
      - .offset:         80
        .size:           8
        .value_kind:     hidden_global_offset_y
      - .offset:         88
        .size:           8
        .value_kind:     hidden_global_offset_z
      - .offset:         96
        .size:           2
        .value_kind:     hidden_grid_dims
    .group_segment_fixed_size: 0
    .kernarg_segment_align: 8
    .kernarg_segment_size: 288
    .language:       OpenCL C
    .language_version:
      - 2
      - 0
    .max_flat_workgroup_size: 1024
    .name:           _ZN2at6native12_GLOBAL__N_133atomic_adaptive_average_gradinputIN3c108BFloat16EEEvPT_PKS5_iiii
    .private_segment_fixed_size: 0
    .sgpr_count:     38
    .sgpr_spill_count: 0
    .symbol:         _ZN2at6native12_GLOBAL__N_133atomic_adaptive_average_gradinputIN3c108BFloat16EEEvPT_PKS5_iiii.kd
    .uniform_work_group_size: 1
    .uses_dynamic_stack: false
    .vgpr_count:     25
    .vgpr_spill_count: 0
    .wavefront_size: 32
    .workgroup_processor_mode: 1
  - .args:
      - .address_space:  global
        .offset:         0
        .size:           8
        .value_kind:     global_buffer
      - .address_space:  global
        .offset:         8
        .size:           8
        .value_kind:     global_buffer
      - .offset:         16
        .size:           4
        .value_kind:     by_value
      - .offset:         20
        .size:           4
        .value_kind:     by_value
      - .offset:         24
        .size:           4
        .value_kind:     by_value
      - .offset:         28
        .size:           4
        .value_kind:     by_value
      - .offset:         32
        .size:           4
        .value_kind:     hidden_block_count_x
      - .offset:         36
        .size:           4
        .value_kind:     hidden_block_count_y
      - .offset:         40
        .size:           4
        .value_kind:     hidden_block_count_z
      - .offset:         44
        .size:           2
        .value_kind:     hidden_group_size_x
      - .offset:         46
        .size:           2
        .value_kind:     hidden_group_size_y
      - .offset:         48
        .size:           2
        .value_kind:     hidden_group_size_z
      - .offset:         50
        .size:           2
        .value_kind:     hidden_remainder_x
      - .offset:         52
        .size:           2
        .value_kind:     hidden_remainder_y
      - .offset:         54
        .size:           2
        .value_kind:     hidden_remainder_z
      - .offset:         72
        .size:           8
        .value_kind:     hidden_global_offset_x
      - .offset:         80
        .size:           8
        .value_kind:     hidden_global_offset_y
      - .offset:         88
        .size:           8
        .value_kind:     hidden_global_offset_z
      - .offset:         96
        .size:           2
        .value_kind:     hidden_grid_dims
    .group_segment_fixed_size: 0
    .kernarg_segment_align: 8
    .kernarg_segment_size: 288
    .language:       OpenCL C
    .language_version:
      - 2
      - 0
    .max_flat_workgroup_size: 1024
    .name:           _ZN2at6native12_GLOBAL__N_126adaptive_average_gradinputIN3c108BFloat16EEEvPT_PKS5_iiii
    .private_segment_fixed_size: 0
    .sgpr_count:     42
    .sgpr_spill_count: 0
    .symbol:         _ZN2at6native12_GLOBAL__N_126adaptive_average_gradinputIN3c108BFloat16EEEvPT_PKS5_iiii.kd
    .uniform_work_group_size: 1
    .uses_dynamic_stack: false
    .vgpr_count:     37
    .vgpr_spill_count: 0
    .wavefront_size: 32
    .workgroup_processor_mode: 1
amdhsa.target:   amdgcn-amd-amdhsa--gfx1100
amdhsa.version:
  - 1
  - 2
...

	.end_amdgpu_metadata
